;; amdgpu-corpus repo=ROCm/rocFFT kind=compiled arch=gfx906 opt=O3
	.text
	.amdgcn_target "amdgcn-amd-amdhsa--gfx906"
	.amdhsa_code_object_version 6
	.protected	bluestein_single_fwd_len680_dim1_sp_op_CI_CI ; -- Begin function bluestein_single_fwd_len680_dim1_sp_op_CI_CI
	.globl	bluestein_single_fwd_len680_dim1_sp_op_CI_CI
	.p2align	8
	.type	bluestein_single_fwd_len680_dim1_sp_op_CI_CI,@function
bluestein_single_fwd_len680_dim1_sp_op_CI_CI: ; @bluestein_single_fwd_len680_dim1_sp_op_CI_CI
; %bb.0:
	v_mul_u32_u24_e32 v1, 0x3c4, v0
	s_load_dwordx4 s[0:3], s[4:5], 0x28
	v_lshrrev_b32_e32 v1, 16, v1
	v_mad_u64_u32 v[56:57], s[6:7], s6, 3, v[1:2]
	v_mov_b32_e32 v57, 0
	s_waitcnt lgkmcnt(0)
	v_cmp_gt_u64_e32 vcc, s[0:1], v[56:57]
	s_and_saveexec_b64 s[0:1], vcc
	s_cbranch_execz .LBB0_23
; %bb.1:
	s_mov_b32 s0, 0xaaaaaaab
	v_mul_hi_u32 v2, v56, s0
	v_mul_lo_u16_e32 v1, 0x44, v1
	s_load_dwordx2 s[12:13], s[4:5], 0x0
	s_load_dwordx2 s[14:15], s[4:5], 0x38
	v_sub_u16_e32 v85, v0, v1
	v_lshrrev_b32_e32 v0, 1, v2
	v_lshl_add_u32 v0, v0, 1, v0
	v_sub_u32_e32 v0, v56, v0
	v_mul_u32_u24_e32 v46, 0x2a8, v0
	v_cmp_gt_u16_e32 vcc, 40, v85
	v_lshlrev_b32_e32 v86, 3, v85
	v_lshlrev_b32_e32 v87, 3, v46
	s_and_saveexec_b64 s[6:7], vcc
	s_cbranch_execz .LBB0_3
; %bb.2:
	s_load_dwordx2 s[0:1], s[4:5], 0x18
	s_waitcnt lgkmcnt(0)
	v_mov_b32_e32 v28, s13
	v_or_b32_e32 v30, 0x140, v85
	v_mov_b32_e32 v36, 0x280
	v_or_b32_e32 v75, 0x280, v85
	s_load_dwordx4 s[8:11], s[0:1], 0x0
	s_waitcnt lgkmcnt(0)
	v_mad_u64_u32 v[0:1], s[0:1], s10, v56, 0
	v_mad_u64_u32 v[2:3], s[0:1], s8, v85, 0
	;; [unrolled: 1-line block ×4, first 2 shown]
	v_mov_b32_e32 v1, v4
	v_lshlrev_b64 v[0:1], 3, v[0:1]
	v_mov_b32_e32 v3, v5
	v_mov_b32_e32 v6, s3
	v_lshlrev_b64 v[2:3], 3, v[2:3]
	v_add_co_u32_e64 v73, s[0:1], s2, v0
	v_addc_co_u32_e64 v74, s[0:1], v6, v1, s[0:1]
	v_add_co_u32_e64 v0, s[0:1], v73, v2
	v_addc_co_u32_e64 v1, s[0:1], v74, v3, s[0:1]
	s_mul_i32 s0, s9, 0x140
	s_mul_hi_u32 s3, s8, 0x140
	s_add_i32 s3, s3, s0
	s_mul_i32 s2, s8, 0x140
	v_mov_b32_e32 v3, s3
	v_add_co_u32_e64 v2, s[0:1], s2, v0
	v_addc_co_u32_e64 v3, s[0:1], v1, v3, s[0:1]
	v_mov_b32_e32 v5, s3
	v_add_co_u32_e64 v4, s[0:1], s2, v2
	v_addc_co_u32_e64 v5, s[0:1], v3, v5, s[0:1]
	;; [unrolled: 3-line block ×3, first 2 shown]
	global_load_dwordx2 v[8:9], v[0:1], off
	global_load_dwordx2 v[10:11], v[2:3], off
	global_load_dwordx2 v[12:13], v[4:5], off
	global_load_dwordx2 v[14:15], v[6:7], off
	global_load_dwordx2 v[16:17], v86, s[12:13]
	global_load_dwordx2 v[18:19], v86, s[12:13] offset:320
	global_load_dwordx2 v[20:21], v86, s[12:13] offset:640
	;; [unrolled: 1-line block ×3, first 2 shown]
	v_mov_b32_e32 v1, s3
	v_add_co_u32_e64 v0, s[0:1], s2, v6
	v_addc_co_u32_e64 v1, s[0:1], v7, v1, s[0:1]
	v_add_co_u32_e64 v55, s[0:1], s12, v86
	v_addc_co_u32_e64 v60, s[0:1], 0, v28, s[0:1]
	v_mad_u64_u32 v[28:29], s[0:1], s8, v30, 0
	global_load_dwordx2 v[2:3], v[0:1], off
	v_mov_b32_e32 v31, s3
	v_mad_u64_u32 v[29:30], s[0:1], s9, v30, v[29:30]
	v_add_co_u32_e64 v0, s[0:1], s2, v0
	v_addc_co_u32_e64 v1, s[0:1], v1, v31, s[0:1]
	global_load_dwordx2 v[4:5], v86, s[12:13] offset:1280
	global_load_dwordx2 v[6:7], v86, s[12:13] offset:1600
	;; [unrolled: 1-line block ×4, first 2 shown]
	v_mov_b32_e32 v32, s3
	global_load_dwordx2 v[30:31], v[0:1], off
	v_add_co_u32_e64 v0, s[0:1], s2, v0
	v_addc_co_u32_e64 v1, s[0:1], v1, v32, s[0:1]
	v_mov_b32_e32 v34, s3
	global_load_dwordx2 v[32:33], v[0:1], off
	v_add_co_u32_e64 v0, s[0:1], s2, v0
	v_addc_co_u32_e64 v1, s[0:1], v1, v34, s[0:1]
	v_lshlrev_b64 v[28:29], 3, v[28:29]
	global_load_dwordx2 v[34:35], v[0:1], off
	v_mad_u64_u32 v[0:1], s[0:1], s8, v36, v[0:1]
	v_add_co_u32_e64 v28, s[0:1], v73, v28
	v_addc_co_u32_e64 v29, s[0:1], v74, v29, s[0:1]
	s_mul_i32 s0, s9, 0x280
	v_add_u32_e32 v1, s0, v1
	global_load_dwordx2 v[36:37], v[0:1], off
	v_mov_b32_e32 v38, s3
	v_add_co_u32_e64 v0, s[0:1], s2, v0
	v_addc_co_u32_e64 v1, s[0:1], v1, v38, s[0:1]
	global_load_dwordx2 v[38:39], v[0:1], off
	v_mov_b32_e32 v40, s3
	v_add_co_u32_e64 v0, s[0:1], s2, v0
	v_addc_co_u32_e64 v1, s[0:1], v1, v40, s[0:1]
	global_load_dwordx2 v[28:29], v[28:29], off
	s_nop 0
	global_load_dwordx2 v[40:41], v[0:1], off
	global_load_dwordx2 v[42:43], v86, s[12:13] offset:2560
	global_load_dwordx2 v[44:45], v86, s[12:13] offset:2880
	global_load_dwordx2 v[47:48], v86, s[12:13] offset:3200
	global_load_dwordx2 v[49:50], v86, s[12:13] offset:3520
	v_mov_b32_e32 v51, s3
	v_add_co_u32_e64 v0, s[0:1], s2, v0
	v_addc_co_u32_e64 v1, s[0:1], v1, v51, s[0:1]
	global_load_dwordx2 v[51:52], v[0:1], off
	global_load_dwordx2 v[53:54], v86, s[12:13] offset:3840
	v_mov_b32_e32 v57, s3
	v_add_co_u32_e64 v0, s[0:1], s2, v0
	v_addc_co_u32_e64 v1, s[0:1], v1, v57, s[0:1]
	s_movk_i32 s0, 0x1000
	v_add_co_u32_e64 v59, s[0:1], s0, v55
	v_addc_co_u32_e64 v60, s[0:1], 0, v60, s[0:1]
	v_mad_u64_u32 v[63:64], s[0:1], s8, v75, 0
	global_load_dwordx2 v[57:58], v[0:1], off
	v_mov_b32_e32 v55, s3
	v_add_co_u32_e64 v0, s[0:1], s2, v0
	v_addc_co_u32_e64 v1, s[0:1], v1, v55, s[0:1]
	v_mov_b32_e32 v55, v64
	v_mad_u64_u32 v[64:65], s[0:1], s9, v75, v[55:56]
	v_mov_b32_e32 v66, s3
	v_add_co_u32_e64 v65, s[0:1], s2, v0
	global_load_dwordx2 v[61:62], v[59:60], off offset:64
	v_addc_co_u32_e64 v66, s[0:1], v1, v66, s[0:1]
	global_load_dwordx2 v[0:1], v[0:1], off
	s_nop 0
	global_load_dwordx2 v[67:68], v[59:60], off offset:384
	global_load_dwordx2 v[69:70], v[65:66], off
	global_load_dwordx2 v[71:72], v[59:60], off offset:704
	v_lshlrev_b64 v[59:60], 3, v[63:64]
	v_lshlrev_b32_e32 v55, 3, v75
	v_add_co_u32_e64 v59, s[0:1], v73, v59
	v_addc_co_u32_e64 v60, s[0:1], v74, v60, s[0:1]
	global_load_dwordx2 v[59:60], v[59:60], off
	s_waitcnt vmcnt(28)
	v_mul_f32_e32 v65, v9, v17
	global_load_dwordx2 v[63:64], v55, s[12:13]
	v_mul_f32_e32 v17, v8, v17
	v_fmac_f32_e32 v65, v8, v16
	v_fma_f32 v66, v9, v16, -v17
	s_waitcnt vmcnt(28)
	v_mul_f32_e32 v8, v11, v19
	v_mul_f32_e32 v9, v10, v19
	v_fmac_f32_e32 v8, v10, v18
	v_fma_f32 v9, v11, v18, -v9
	s_waitcnt vmcnt(27)
	v_mul_f32_e32 v10, v13, v21
	v_mul_f32_e32 v11, v12, v21
	v_lshl_add_u32 v55, v85, 3, v87
	v_add_u32_e32 v73, v87, v86
	v_fmac_f32_e32 v10, v12, v20
	v_fma_f32 v11, v13, v20, -v11
	ds_write_b64 v55, v[65:66]
	ds_write2_b64 v73, v[8:9], v[10:11] offset0:40 offset1:80
	s_waitcnt vmcnt(24)
	v_mul_f32_e32 v8, v3, v5
	v_mul_f32_e32 v5, v2, v5
	v_fmac_f32_e32 v8, v2, v4
	v_fma_f32 v9, v3, v4, -v5
	s_waitcnt vmcnt(20)
	v_mul_f32_e32 v2, v31, v7
	v_mul_f32_e32 v3, v30, v7
	s_waitcnt vmcnt(19)
	v_mul_f32_e32 v4, v33, v25
	v_mul_f32_e32 v5, v32, v25
	v_fmac_f32_e32 v2, v30, v6
	v_fma_f32 v3, v31, v6, -v3
	v_fmac_f32_e32 v4, v32, v24
	v_fma_f32 v5, v33, v24, -v5
	ds_write2_b64 v73, v[2:3], v[4:5] offset0:200 offset1:240
	s_waitcnt vmcnt(18)
	v_mul_f32_e32 v2, v35, v27
	v_mul_f32_e32 v3, v34, v27
	v_fmac_f32_e32 v2, v34, v26
	v_fma_f32 v3, v35, v26, -v3
	v_add_u32_e32 v6, 0x800, v73
	v_mul_f32_e32 v12, v15, v23
	v_mul_f32_e32 v13, v14, v23
	s_waitcnt vmcnt(13)
	v_mul_f32_e32 v4, v29, v43
	v_mul_f32_e32 v5, v28, v43
	v_fmac_f32_e32 v4, v28, v42
	v_fma_f32 v5, v29, v42, -v5
	ds_write2_b64 v6, v[2:3], v[4:5] offset0:24 offset1:64
	s_waitcnt vmcnt(12)
	v_mul_f32_e32 v2, v37, v45
	v_mul_f32_e32 v3, v36, v45
	s_waitcnt vmcnt(11)
	v_mul_f32_e32 v4, v39, v48
	v_mul_f32_e32 v5, v38, v48
	v_fmac_f32_e32 v2, v36, v44
	v_fma_f32 v3, v37, v44, -v3
	v_fmac_f32_e32 v4, v38, v47
	v_fma_f32 v5, v39, v47, -v5
	ds_write2_b64 v6, v[2:3], v[4:5] offset0:104 offset1:144
	s_waitcnt vmcnt(10)
	v_mul_f32_e32 v2, v41, v50
	v_mul_f32_e32 v3, v40, v50
	s_waitcnt vmcnt(8)
	v_mul_f32_e32 v4, v52, v54
	v_mul_f32_e32 v5, v51, v54
	v_fmac_f32_e32 v2, v40, v49
	v_fma_f32 v3, v41, v49, -v3
	v_fmac_f32_e32 v4, v51, v53
	v_fma_f32 v5, v52, v53, -v5
	ds_write2_b64 v6, v[2:3], v[4:5] offset0:184 offset1:224
	v_add_u32_e32 v6, 0x1000, v73
	v_fmac_f32_e32 v12, v14, v22
	v_fma_f32 v13, v15, v22, -v13
	ds_write2_b64 v73, v[12:13], v[8:9] offset0:120 offset1:160
	s_waitcnt vmcnt(6)
	v_mul_f32_e32 v2, v58, v62
	s_waitcnt vmcnt(4)
	v_mul_f32_e32 v4, v1, v68
	v_mul_f32_e32 v3, v57, v62
	v_fmac_f32_e32 v4, v0, v67
	v_mul_f32_e32 v0, v0, v68
	v_fmac_f32_e32 v2, v57, v61
	v_fma_f32 v3, v58, v61, -v3
	v_fma_f32 v5, v1, v67, -v0
	ds_write2_b64 v6, v[2:3], v[4:5] offset0:8 offset1:48
	s_waitcnt vmcnt(2)
	v_mul_f32_e32 v0, v70, v72
	v_mul_f32_e32 v1, v69, v72
	v_fmac_f32_e32 v0, v69, v71
	s_waitcnt vmcnt(0)
	v_mul_f32_e32 v2, v60, v64
	v_mul_f32_e32 v3, v59, v64
	v_fma_f32 v1, v70, v71, -v1
	v_fmac_f32_e32 v2, v59, v63
	v_fma_f32 v3, v60, v63, -v3
	ds_write2_b64 v6, v[0:1], v[2:3] offset0:88 offset1:128
.LBB0_3:
	s_or_b64 exec, exec, s[6:7]
	v_mov_b32_e32 v4, 0
	v_mov_b32_e32 v5, 0
	s_waitcnt lgkmcnt(0)
	s_barrier
	s_waitcnt lgkmcnt(0)
                                        ; implicit-def: $vgpr10
                                        ; implicit-def: $vgpr24
                                        ; implicit-def: $vgpr32
                                        ; implicit-def: $vgpr44
                                        ; implicit-def: $vgpr30
                                        ; implicit-def: $vgpr22
                                        ; implicit-def: $vgpr18
                                        ; implicit-def: $vgpr14
	s_and_saveexec_b64 s[0:1], vcc
	s_cbranch_execz .LBB0_5
; %bb.4:
	v_lshl_add_u32 v0, v46, 3, v86
	v_add_u32_e32 v1, 0x400, v0
	ds_read2_b64 v[4:7], v0 offset1:40
	ds_read2_b64 v[12:15], v0 offset0:80 offset1:120
	ds_read2_b64 v[16:19], v0 offset0:160 offset1:200
	;; [unrolled: 1-line block ×3, first 2 shown]
	v_add_u32_e32 v1, 0x800, v0
	ds_read2_b64 v[28:31], v1 offset0:64 offset1:104
	ds_read2_b64 v[8:11], v1 offset0:144 offset1:184
	v_add_u32_e32 v1, 0xc00, v0
	ds_read2_b64 v[24:27], v1 offset0:96 offset1:136
	v_add_u32_e32 v1, 0x1000, v0
	ds_read2_b64 v[32:35], v1 offset0:48 offset1:88
	ds_read_b64 v[44:45], v0 offset:5120
.LBB0_5:
	s_or_b64 exec, exec, s[0:1]
	s_waitcnt lgkmcnt(0)
	v_sub_f32_e32 v41, v7, v45
	v_mul_f32_e32 v47, 0xbeb8f4ab, v41
	v_sub_f32_e32 v43, v13, v35
	v_add_f32_e32 v65, v44, v6
	v_sub_f32_e32 v40, v6, v44
	v_mov_b32_e32 v0, v47
	v_mul_f32_e32 v49, 0xbf2c7751, v43
	v_add_f32_e32 v66, v45, v7
	s_mov_b32 s0, 0x3f6eb680
	v_mul_f32_e32 v48, 0xbeb8f4ab, v40
	v_fmac_f32_e32 v0, 0x3f6eb680, v65
	v_add_f32_e32 v69, v34, v12
	v_sub_f32_e32 v42, v12, v34
	v_mov_b32_e32 v2, v49
	v_add_f32_e32 v0, v0, v4
	v_fma_f32 v1, v66, s0, -v48
	s_mov_b32 s1, 0x3f3d2fb0
	v_add_f32_e32 v70, v35, v13
	v_mul_f32_e32 v50, 0xbf2c7751, v42
	v_fmac_f32_e32 v2, 0x3f3d2fb0, v69
	v_sub_f32_e32 v102, v15, v33
	v_add_f32_e32 v1, v1, v5
	v_add_f32_e32 v0, v2, v0
	v_fma_f32 v2, v70, s1, -v50
	v_mul_f32_e32 v51, 0xbf65296c, v102
	v_add_f32_e32 v1, v2, v1
	v_add_f32_e32 v72, v32, v14
	v_sub_f32_e32 v88, v14, v32
	v_mov_b32_e32 v2, v51
	s_mov_b32 s2, 0x3ee437d1
	v_add_f32_e32 v73, v33, v15
	v_mul_f32_e32 v52, 0xbf65296c, v88
	v_fmac_f32_e32 v2, 0x3ee437d1, v72
	v_sub_f32_e32 v115, v17, v27
	v_add_f32_e32 v0, v2, v0
	v_fma_f32 v2, v73, s2, -v52
	v_mul_f32_e32 v53, 0xbf7ee86f, v115
	v_add_f32_e32 v1, v2, v1
	v_add_f32_e32 v76, v26, v16
	v_mov_b32_e32 v2, v53
	v_sub_f32_e32 v116, v16, v26
	s_mov_b32 s3, 0x3dbcf732
	v_add_f32_e32 v77, v27, v17
	v_fmac_f32_e32 v2, 0x3dbcf732, v76
	v_mul_f32_e32 v54, 0xbf7ee86f, v116
	v_sub_f32_e32 v127, v19, v25
	v_add_f32_e32 v0, v2, v0
	v_fma_f32 v2, v77, s3, -v54
	v_mul_f32_e32 v55, 0xbf763a35, v127
	v_add_f32_e32 v1, v2, v1
	v_add_f32_e32 v92, v24, v18
	v_mov_b32_e32 v2, v55
	v_sub_f32_e32 v128, v18, v24
	v_fmac_f32_e32 v2, 0xbe8c1d8e, v92
	s_mov_b32 s6, 0xbe8c1d8e
	v_add_f32_e32 v96, v25, v19
	v_mul_f32_e32 v63, 0xbf763a35, v128
	v_sub_f32_e32 v143, v21, v11
	v_add_f32_e32 v0, v2, v0
	v_fma_f32 v2, v96, s6, -v63
	v_mul_f32_e32 v64, 0xbf4c4adb, v143
	v_add_f32_e32 v1, v2, v1
	v_add_f32_e32 v98, v10, v20
	v_mov_b32_e32 v2, v64
	v_sub_f32_e32 v144, v20, v10
	v_fmac_f32_e32 v2, 0xbf1a4643, v98
	s_mov_b32 s7, 0xbf1a4643
	v_add_f32_e32 v101, v11, v21
	;; [unrolled: 12-line block ×3, first 2 shown]
	v_mul_f32_e32 v71, 0xbf06c442, v194
	v_sub_f32_e32 v195, v29, v31
	v_add_f32_e32 v0, v2, v0
	v_fma_f32 v2, v106, s8, -v71
	v_mul_f32_e32 v74, 0xbe3c28d5, v195
	v_add_f32_e32 v1, v2, v1
	v_add_f32_e32 v120, v30, v28
	v_mov_b32_e32 v2, v74
	v_sub_f32_e32 v196, v28, v30
	s_mov_b32 s9, 0xbf7ba420
	v_fmac_f32_e32 v2, 0xbf7ba420, v120
	v_add_f32_e32 v123, v31, v29
	v_mul_f32_e32 v75, 0xbe3c28d5, v196
	v_mul_f32_e32 v78, 0xbf2c7751, v41
	v_fma_f32 v3, v123, s9, -v75
	v_add_f32_e32 v2, v2, v0
	v_mov_b32_e32 v0, v78
	v_mul_f32_e32 v79, 0xbf7ee86f, v43
	v_add_f32_e32 v3, v3, v1
	v_fmac_f32_e32 v0, 0x3f3d2fb0, v65
	v_mov_b32_e32 v1, v79
	v_add_f32_e32 v0, v0, v4
	v_fmac_f32_e32 v1, 0x3dbcf732, v69
	v_mul_f32_e32 v83, 0xbf2c7751, v40
	v_add_f32_e32 v0, v1, v0
	v_fma_f32 v1, v66, s1, -v83
	v_mul_f32_e32 v84, 0xbf7ee86f, v42
	v_add_f32_e32 v1, v1, v5
	v_fma_f32 v36, v70, s3, -v84
	v_mul_f32_e32 v80, 0xbf4c4adb, v102
	v_add_f32_e32 v1, v36, v1
	v_mov_b32_e32 v36, v80
	v_fmac_f32_e32 v36, 0xbf1a4643, v72
	v_mul_f32_e32 v90, 0xbf4c4adb, v88
	v_add_f32_e32 v0, v36, v0
	v_fma_f32 v36, v73, s7, -v90
	v_mul_f32_e32 v81, 0xbe3c28d5, v115
	v_add_f32_e32 v1, v36, v1
	v_mov_b32_e32 v36, v81
	v_fmac_f32_e32 v36, 0xbf7ba420, v76
	v_mul_f32_e32 v93, 0xbe3c28d5, v116
	v_add_f32_e32 v0, v36, v0
	v_fma_f32 v36, v77, s9, -v93
	v_mul_f32_e32 v82, 0x3f06c442, v127
	v_add_f32_e32 v1, v36, v1
	v_mov_b32_e32 v36, v82
	v_fmac_f32_e32 v36, 0xbf59a7d5, v92
	v_mul_f32_e32 v95, 0x3f06c442, v128
	v_add_f32_e32 v0, v36, v0
	v_fma_f32 v36, v96, s8, -v95
	v_mul_f32_e32 v89, 0x3f763a35, v143
	v_add_f32_e32 v1, v36, v1
	v_mov_b32_e32 v36, v89
	v_fmac_f32_e32 v36, 0xbe8c1d8e, v98
	v_mul_f32_e32 v97, 0x3f763a35, v144
	v_add_f32_e32 v0, v36, v0
	v_fma_f32 v36, v101, s6, -v97
	v_mul_f32_e32 v91, 0x3f65296c, v193
	v_add_f32_e32 v1, v36, v1
	v_mov_b32_e32 v36, v91
	v_fmac_f32_e32 v36, 0x3ee437d1, v103
	v_mul_f32_e32 v99, 0x3f65296c, v194
	v_add_f32_e32 v0, v36, v0
	v_fma_f32 v36, v106, s2, -v99
	v_mul_f32_e32 v94, 0x3eb8f4ab, v195
	v_add_f32_e32 v1, v36, v1
	v_mov_b32_e32 v36, v94
	v_fmac_f32_e32 v36, 0x3f6eb680, v120
	v_mul_f32_e32 v100, 0x3eb8f4ab, v196
	v_add_f32_e32 v0, v36, v0
	v_fma_f32 v36, v123, s0, -v100
	v_mul_f32_e32 v104, 0xbf65296c, v41
	v_add_f32_e32 v1, v36, v1
	v_mov_b32_e32 v36, v104
	v_mul_f32_e32 v105, 0xbf4c4adb, v43
	v_fmac_f32_e32 v36, 0x3ee437d1, v65
	v_mov_b32_e32 v37, v105
	v_add_f32_e32 v36, v36, v4
	v_fmac_f32_e32 v37, 0xbf1a4643, v69
	v_mul_f32_e32 v110, 0xbf65296c, v40
	v_add_f32_e32 v36, v37, v36
	v_fma_f32 v37, v66, s2, -v110
	v_mul_f32_e32 v111, 0xbf4c4adb, v42
	v_add_f32_e32 v37, v37, v5
	v_fma_f32 v38, v70, s7, -v111
	v_mul_f32_e32 v107, 0x3e3c28d5, v102
	v_add_f32_e32 v37, v38, v37
	v_mov_b32_e32 v38, v107
	v_fmac_f32_e32 v38, 0xbf7ba420, v72
	v_mul_f32_e32 v113, 0x3e3c28d5, v88
	v_add_f32_e32 v36, v38, v36
	v_fma_f32 v38, v73, s9, -v113
	v_mul_f32_e32 v108, 0x3f763a35, v115
	v_add_f32_e32 v37, v38, v37
	v_mov_b32_e32 v38, v108
	v_fmac_f32_e32 v38, 0xbe8c1d8e, v76
	v_mul_f32_e32 v117, 0x3f763a35, v116
	v_add_f32_e32 v36, v38, v36
	v_fma_f32 v38, v77, s6, -v117
	v_mul_f32_e32 v109, 0x3f2c7751, v127
	v_add_f32_e32 v37, v38, v37
	v_mov_b32_e32 v38, v109
	v_fmac_f32_e32 v38, 0x3f3d2fb0, v92
	v_mul_f32_e32 v119, 0x3f2c7751, v128
	v_add_f32_e32 v36, v38, v36
	v_fma_f32 v38, v96, s1, -v119
	v_mul_f32_e32 v112, 0xbeb8f4ab, v143
	v_add_f32_e32 v37, v38, v37
	v_mov_b32_e32 v38, v112
	v_fmac_f32_e32 v38, 0x3f6eb680, v98
	v_mul_f32_e32 v121, 0xbeb8f4ab, v144
	v_add_f32_e32 v36, v38, v36
	v_fma_f32 v38, v101, s0, -v121
	v_mul_f32_e32 v114, 0xbf7ee86f, v193
	v_add_f32_e32 v37, v38, v37
	v_mov_b32_e32 v38, v114
	v_fmac_f32_e32 v38, 0x3dbcf732, v103
	v_mul_f32_e32 v122, 0xbf7ee86f, v194
	v_add_f32_e32 v36, v38, v36
	v_fma_f32 v38, v106, s3, -v122
	v_mul_f32_e32 v118, 0xbf06c442, v195
	v_add_f32_e32 v37, v38, v37
	v_mov_b32_e32 v38, v118
	v_fmac_f32_e32 v38, 0xbf59a7d5, v120
	v_mul_f32_e32 v124, 0xbf06c442, v196
	v_add_f32_e32 v57, v38, v36
	v_fma_f32 v36, v123, s8, -v124
	v_mul_f32_e32 v125, 0xbf7ee86f, v41
	v_add_f32_e32 v58, v36, v37
	v_mov_b32_e32 v36, v125
	v_mul_f32_e32 v126, 0xbe3c28d5, v43
	;; [unrolled: 56-line block ×4, first 2 shown]
	v_fmac_f32_e32 v36, 0xbf1a4643, v65
	v_mov_b32_e32 v37, v162
	v_add_f32_e32 v36, v36, v4
	v_fmac_f32_e32 v37, 0xbe8c1d8e, v69
	v_mul_f32_e32 v166, 0xbf4c4adb, v40
	v_add_f32_e32 v36, v37, v36
	v_fma_f32 v37, v66, s7, -v166
	v_mul_f32_e32 v167, 0x3f763a35, v42
	v_add_f32_e32 v37, v37, v5
	v_fma_f32 v38, v70, s6, -v167
	v_mul_f32_e32 v163, 0xbeb8f4ab, v102
	v_add_f32_e32 v37, v38, v37
	v_mov_b32_e32 v38, v163
	v_fmac_f32_e32 v38, 0x3f6eb680, v72
	v_mul_f32_e32 v169, 0xbeb8f4ab, v88
	v_add_f32_e32 v36, v38, v36
	v_fma_f32 v38, v73, s0, -v169
	v_mul_f32_e32 v164, 0xbf06c442, v115
	v_add_f32_e32 v37, v38, v37
	v_mov_b32_e32 v38, v164
	v_fmac_f32_e32 v38, 0xbf59a7d5, v76
	;; [unrolled: 7-line block ×6, first 2 shown]
	v_mul_f32_e32 v176, 0x3f65296c, v196
	v_mul_f32_e32 v183, 0xbf06c442, v41
	v_fma_f32 v39, v123, s2, -v176
	v_add_f32_e32 v38, v38, v36
	v_mov_b32_e32 v36, v183
	v_mul_f32_e32 v184, 0x3f65296c, v43
	v_add_f32_e32 v39, v39, v37
	v_fmac_f32_e32 v36, 0xbf59a7d5, v65
	v_mov_b32_e32 v37, v184
	v_add_f32_e32 v36, v36, v4
	v_fmac_f32_e32 v37, 0x3ee437d1, v69
	v_mul_f32_e32 v177, 0xbf7ee86f, v102
	v_add_f32_e32 v36, v37, v36
	v_mov_b32_e32 v37, v177
	v_fmac_f32_e32 v37, 0x3dbcf732, v72
	v_mul_f32_e32 v178, 0x3f4c4adb, v115
	v_add_f32_e32 v36, v37, v36
	v_mov_b32_e32 v37, v178
	;; [unrolled: 4-line block ×6, first 2 shown]
	v_fmac_f32_e32 v37, 0xbe8c1d8e, v120
	v_mul_f32_e32 v191, 0xbf06c442, v40
	v_add_f32_e32 v36, v37, v36
	v_fma_f32 v37, v66, s8, -v191
	v_mul_f32_e32 v192, 0x3f65296c, v42
	v_add_f32_e32 v37, v37, v5
	v_fma_f32 v185, v70, s2, -v192
	;; [unrolled: 3-line block ×7, first 2 shown]
	v_add_f32_e32 v37, v185, v37
	v_mul_f32_e32 v185, 0xbf763a35, v196
	v_fma_f32 v197, v123, s6, -v185
	v_add_f32_e32 v37, v197, v37
	v_mul_f32_e32 v197, 0xbe3c28d5, v41
	v_fma_f32 v41, v65, s9, -v197
	v_mul_f32_e32 v43, 0x3eb8f4ab, v43
	v_add_f32_e32 v41, v41, v4
	v_fma_f32 v198, v69, s0, -v43
	v_add_f32_e32 v41, v198, v41
	v_mul_f32_e32 v198, 0xbe3c28d5, v40
	v_mov_b32_e32 v40, v198
	v_mul_f32_e32 v199, 0x3eb8f4ab, v42
	v_fmac_f32_e32 v40, 0xbf7ba420, v66
	v_mov_b32_e32 v42, v199
	v_add_f32_e32 v40, v40, v5
	v_fmac_f32_e32 v42, 0x3f6eb680, v70
	v_add_f32_e32 v40, v42, v40
	v_mul_f32_e32 v42, 0xbf06c442, v102
	v_fma_f32 v102, v72, s8, -v42
	v_mul_f32_e32 v88, 0xbf06c442, v88
	v_add_f32_e32 v41, v102, v41
	v_mov_b32_e32 v102, v88
	v_fmac_f32_e32 v102, 0xbf59a7d5, v73
	v_add_f32_e32 v40, v102, v40
	v_mul_f32_e32 v102, 0x3f2c7751, v115
	v_fma_f32 v115, v76, s1, -v102
	v_add_f32_e32 v41, v115, v41
	v_mul_f32_e32 v115, 0x3f2c7751, v116
	v_mov_b32_e32 v116, v115
	v_fmac_f32_e32 v116, 0x3f3d2fb0, v77
	v_add_f32_e32 v40, v116, v40
	v_mul_f32_e32 v116, 0xbf4c4adb, v127
	v_fma_f32 v127, v92, s7, -v116
	v_add_f32_e32 v41, v127, v41
	v_mul_f32_e32 v127, 0xbf4c4adb, v128
	v_mov_b32_e32 v128, v127
	v_fmac_f32_e32 v128, 0xbf1a4643, v96
	v_add_f32_e32 v40, v128, v40
	v_mul_f32_e32 v128, 0x3f65296c, v143
	v_fma_f32 v143, v98, s2, -v128
	v_add_f32_e32 v41, v143, v41
	v_mul_f32_e32 v143, 0x3f65296c, v144
	v_mov_b32_e32 v144, v143
	v_fmac_f32_e32 v144, 0x3ee437d1, v101
	v_add_f32_e32 v40, v144, v40
	v_mul_f32_e32 v144, 0xbf763a35, v193
	v_fma_f32 v193, v103, s6, -v144
	v_add_f32_e32 v41, v193, v41
	v_mul_f32_e32 v193, 0xbf763a35, v194
	v_mov_b32_e32 v194, v193
	v_mul_f32_e32 v196, 0x3f7ee86f, v196
	v_fmac_f32_e32 v194, 0xbe8c1d8e, v106
	v_mul_f32_e32 v195, 0x3f7ee86f, v195
	v_mov_b32_e32 v200, v196
	v_add_f32_e32 v194, v194, v40
	v_fmac_f32_e32 v200, 0x3dbcf732, v123
	v_fma_f32 v40, v120, s3, -v195
	v_fmac_f32_e32 v197, 0xbf7ba420, v65
	v_add_f32_e32 v40, v40, v41
	v_add_f32_e32 v41, v200, v194
	;; [unrolled: 1-line block ×3, first 2 shown]
	v_fmac_f32_e32 v43, 0x3f6eb680, v69
	v_add_f32_e32 v43, v43, v194
	v_fmac_f32_e32 v42, 0xbf59a7d5, v72
	v_add_f32_e32 v42, v42, v43
	v_fmac_f32_e32 v102, 0x3f3d2fb0, v76
	v_fma_f32 v43, v66, s9, -v198
	v_add_f32_e32 v42, v102, v42
	v_add_f32_e32 v43, v43, v5
	v_fma_f32 v102, v70, s0, -v199
	v_add_f32_e32 v43, v102, v43
	v_fma_f32 v88, v73, s8, -v88
	;; [unrolled: 2-line block ×6, first 2 shown]
	v_fmac_f32_e32 v116, 0xbf1a4643, v92
	v_add_f32_e32 v43, v88, v43
	v_fma_f32 v88, v123, s3, -v196
	s_load_dwordx2 s[6:7], s[4:5], 0x20
	s_load_dwordx2 s[2:3], s[4:5], 0x8
	v_add_f32_e32 v42, v116, v42
	v_fmac_f32_e32 v128, 0x3ee437d1, v98
	v_add_f32_e32 v42, v128, v42
	v_fmac_f32_e32 v144, 0xbe8c1d8e, v103
	;; [unrolled: 2-line block ×3, first 2 shown]
	v_add_f32_e32 v42, v195, v42
	v_add_f32_e32 v43, v88, v43
	v_mul_lo_u16_e32 v88, 17, v85
	s_waitcnt lgkmcnt(0)
	s_barrier
	s_and_saveexec_b64 s[0:1], vcc
	s_cbranch_execz .LBB0_7
; %bb.6:
	v_mul_f32_e32 v116, 0x3f6eb680, v66
	v_mul_f32_e32 v128, 0x3f3d2fb0, v66
	;; [unrolled: 1-line block ×14, first 2 shown]
	v_add_f32_e32 v66, v191, v66
	v_mul_f32_e32 v115, 0x3f6eb680, v65
	v_mul_f32_e32 v127, 0x3f3d2fb0, v65
	;; [unrolled: 1-line block ×14, first 2 shown]
	v_add_f32_e32 v70, v192, v70
	v_add_f32_e32 v66, v66, v5
	v_mul_f32_e32 v198, 0x3f3d2fb0, v69
	v_mul_f32_e32 v200, 0x3dbcf732, v69
	;; [unrolled: 1-line block ×14, first 2 shown]
	v_add_f32_e32 v66, v70, v66
	v_add_f32_e32 v70, v190, v73
	v_sub_f32_e32 v65, v65, v183
	v_mul_f32_e32 v210, 0x3ee437d1, v72
	v_mul_f32_e32 v212, 0xbf1a4643, v72
	;; [unrolled: 1-line block ×14, first 2 shown]
	v_add_f32_e32 v66, v70, v66
	v_add_f32_e32 v70, v189, v77
	v_sub_f32_e32 v69, v69, v184
	v_add_f32_e32 v65, v65, v4
	v_mul_f32_e32 v222, 0x3dbcf732, v76
	v_mul_f32_e32 v224, 0xbf7ba420, v76
	;; [unrolled: 1-line block ×14, first 2 shown]
	v_add_f32_e32 v66, v70, v66
	v_add_f32_e32 v70, v188, v96
	;; [unrolled: 1-line block ×3, first 2 shown]
	v_sub_f32_e32 v72, v72, v177
	v_mul_f32_e32 v234, 0xbe8c1d8e, v92
	v_mul_f32_e32 v236, 0xbf59a7d5, v92
	;; [unrolled: 1-line block ×7, first 2 shown]
	v_add_f32_e32 v66, v70, v66
	v_add_f32_e32 v70, v187, v101
	;; [unrolled: 1-line block ×3, first 2 shown]
	v_sub_f32_e32 v72, v76, v178
	v_mul_f32_e32 v246, 0xbf1a4643, v98
	v_mul_f32_e32 v248, 0xbe8c1d8e, v98
	;; [unrolled: 1-line block ×7, first 2 shown]
	v_add_f32_e32 v66, v70, v66
	v_mul_f32_e32 v70, 0x3f3d2fb0, v106
	v_add_f32_e32 v65, v72, v65
	v_sub_f32_e32 v72, v92, v179
	v_mul_f32_e32 v190, 0xbf59a7d5, v103
	v_mul_f32_e32 v255, 0x3ee437d1, v103
	;; [unrolled: 1-line block ×3, first 2 shown]
	v_add_f32_e32 v70, v186, v70
	v_mul_f32_e32 v186, 0xbf1a4643, v103
	v_mul_f32_e32 v183, 0x3f6eb680, v103
	;; [unrolled: 1-line block ×4, first 2 shown]
	v_add_f32_e32 v65, v72, v65
	v_sub_f32_e32 v72, v98, v180
	v_add_f32_e32 v66, v70, v66
	v_mul_f32_e32 v70, 0xbe8c1d8e, v123
	v_add_f32_e32 v65, v72, v65
	v_sub_f32_e32 v72, v103, v181
	v_add_f32_e32 v70, v185, v70
	v_add_f32_e32 v65, v72, v65
	v_mul_f32_e32 v72, 0xbe8c1d8e, v120
	v_sub_f32_e32 v72, v72, v182
	v_add_f32_e32 v66, v70, v66
	v_add_f32_e32 v70, v166, v197
	;; [unrolled: 1-line block ×11, first 2 shown]
	v_mul_f32_e32 v189, 0xbf59a7d5, v106
	v_mul_f32_e32 v96, 0x3ee437d1, v106
	;; [unrolled: 1-line block ×6, first 2 shown]
	v_add_f32_e32 v70, v72, v70
	v_add_f32_e32 v72, v174, v73
	v_mul_f32_e32 v185, 0xbf7ba420, v123
	v_mul_f32_e32 v187, 0x3f6eb680, v123
	v_mul_f32_e32 v179, 0xbf59a7d5, v123
	v_mul_f32_e32 v98, 0x3f3d2fb0, v123
	v_mul_f32_e32 v180, 0xbf1a4643, v123
	v_mul_f32_e32 v123, 0x3ee437d1, v123
	v_add_f32_e32 v70, v72, v70
	v_add_f32_e32 v72, v175, v106
	;; [unrolled: 1-line block ×5, first 2 shown]
	v_sub_f32_e32 v72, v196, v161
	v_add_f32_e32 v72, v72, v4
	v_sub_f32_e32 v73, v208, v162
	v_add_f32_e32 v72, v73, v72
	v_sub_f32_e32 v73, v220, v163
	v_add_f32_e32 v72, v73, v72
	v_sub_f32_e32 v73, v232, v164
	v_add_f32_e32 v72, v73, v72
	v_sub_f32_e32 v73, v244, v165
	v_add_f32_e32 v72, v73, v72
	v_sub_f32_e32 v73, v254, v168
	v_mul_f32_e32 v177, 0xbf7ba420, v120
	v_mul_f32_e32 v178, 0x3f6eb680, v120
	;; [unrolled: 1-line block ×6, first 2 shown]
	v_add_f32_e32 v72, v73, v72
	v_sub_f32_e32 v69, v69, v170
	v_add_f32_e32 v69, v69, v72
	v_sub_f32_e32 v72, v120, v172
	v_add_f32_e32 v69, v72, v69
	v_add_f32_e32 v72, v150, v195
	;; [unrolled: 1-line block ×17, first 2 shown]
	v_sub_f32_e32 v72, v194, v145
	v_add_f32_e32 v72, v72, v4
	v_sub_f32_e32 v106, v206, v146
	v_add_f32_e32 v72, v106, v72
	;; [unrolled: 2-line block ×8, first 2 shown]
	v_add_f32_e32 v103, v132, v193
	v_add_f32_e32 v103, v103, v5
	;; [unrolled: 1-line block ×16, first 2 shown]
	v_sub_f32_e32 v98, v144, v125
	v_add_f32_e32 v98, v98, v4
	v_sub_f32_e32 v103, v204, v126
	v_add_f32_e32 v98, v103, v98
	;; [unrolled: 2-line block ×8, first 2 shown]
	v_add_f32_e32 v98, v110, v102
	v_add_f32_e32 v98, v98, v5
	;; [unrolled: 1-line block ×16, first 2 shown]
	v_sub_f32_e32 v98, v143, v104
	v_add_f32_e32 v83, v83, v128
	v_sub_f32_e32 v78, v127, v78
	v_add_f32_e32 v48, v48, v116
	;; [unrolled: 2-line block ×3, first 2 shown]
	v_add_f32_e32 v83, v83, v5
	v_add_f32_e32 v78, v78, v4
	;; [unrolled: 1-line block ×21, first 2 shown]
	v_sub_f32_e32 v49, v198, v49
	v_add_f32_e32 v5, v31, v5
	v_add_f32_e32 v4, v30, v4
	v_sub_f32_e32 v101, v202, v105
	v_add_f32_e32 v84, v84, v201
	v_sub_f32_e32 v79, v200, v79
	v_add_f32_e32 v48, v50, v48
	v_add_f32_e32 v50, v52, v211
	v_add_f32_e32 v47, v49, v47
	v_sub_f32_e32 v49, v210, v51
	v_add_f32_e32 v5, v9, v5
	v_add_f32_e32 v4, v8, v4
	;; [unrolled: 4-line block ×19, first 2 shown]
	v_add_f32_e32 v5, v45, v5
	v_add_f32_e32 v4, v44, v4
	v_add_lshl_u32 v6, v46, v88, 3
	v_add_f32_e32 v101, v92, v98
	v_add_f32_e32 v83, v84, v83
	;; [unrolled: 1-line block ×3, first 2 shown]
	ds_write2_b64 v6, v[4:5], v[47:48] offset1:1
	ds_write2_b64 v6, v[82:83], v[101:102] offset0:2 offset1:3
	ds_write2_b64 v6, v[76:77], v[72:73] offset0:4 offset1:5
	;; [unrolled: 1-line block ×7, first 2 shown]
	ds_write_b64 v6, v[2:3] offset:128
.LBB0_7:
	s_or_b64 exec, exec, s[0:1]
	v_add_lshl_u32 v90, v46, v85, 3
	v_add_u32_e32 v4, 0x800, v90
	s_waitcnt lgkmcnt(0)
	s_barrier
	ds_read2_b64 v[16:19], v90 offset1:68
	ds_read2_b64 v[20:23], v90 offset0:170 offset1:238
	ds_read2_b64 v[24:27], v4 offset0:84 offset1:152
	v_add_u32_e32 v4, 0xc00, v90
	ds_read2_b64 v[28:31], v4 offset0:126 offset1:194
	v_cmp_gt_u16_e64 s[0:1], 34, v85
	s_and_saveexec_b64 s[4:5], s[0:1]
	s_cbranch_execz .LBB0_9
; %bb.8:
	v_add_u32_e32 v4, 0x400, v90
	ds_read2_b64 v[40:43], v4 offset0:8 offset1:178
	v_add_u32_e32 v4, 0xe00, v90
	ds_read2_b64 v[36:39], v4 offset0:28 offset1:198
.LBB0_9:
	s_or_b64 exec, exec, s[4:5]
	s_movk_i32 s8, 0xf1
	v_mul_lo_u16_sdwa v4, v85, s8 dst_sel:DWORD dst_unused:UNUSED_PAD src0_sel:BYTE_0 src1_sel:DWORD
	v_lshrrev_b16_e32 v44, 12, v4
	v_add_u16_e32 v6, 0x44, v85
	v_mul_lo_u16_e32 v4, 17, v44
	v_mul_lo_u16_sdwa v7, v6, s8 dst_sel:DWORD dst_unused:UNUSED_PAD src0_sel:BYTE_0 src1_sel:DWORD
	v_sub_u16_e32 v4, v85, v4
	v_lshrrev_b16_e32 v47, 12, v7
	v_and_b32_e32 v45, 0xff, v4
	v_mul_lo_u16_e32 v7, 17, v47
	v_mad_u64_u32 v[4:5], s[4:5], v45, 24, s[2:3]
	v_sub_u16_e32 v6, v6, v7
	v_and_b32_e32 v48, 0xff, v6
	v_mad_u64_u32 v[32:33], s[4:5], v48, 24, s[2:3]
	global_load_dwordx2 v[65:66], v[4:5], off offset:16
	global_load_dwordx4 v[12:15], v[4:5], off
	global_load_dwordx4 v[8:11], v[32:33], off
	v_add_u16_e32 v4, 0x88, v85
	v_mul_lo_u16_sdwa v5, v4, s8 dst_sel:DWORD dst_unused:UNUSED_PAD src0_sel:BYTE_0 src1_sel:DWORD
	v_lshrrev_b16_e32 v91, 12, v5
	v_mul_lo_u16_e32 v5, 17, v91
	v_sub_u16_e32 v4, v4, v5
	v_and_b32_e32 v92, 0xff, v4
	v_mad_u64_u32 v[34:35], s[4:5], v92, 24, s[2:3]
	global_load_dwordx2 v[67:68], v[32:33], off offset:16
	global_load_dwordx4 v[4:7], v[34:35], off
	global_load_dwordx2 v[63:64], v[34:35], off offset:16
	s_load_dwordx4 s[4:7], s[6:7], 0x0
	s_waitcnt vmcnt(0) lgkmcnt(0)
	s_barrier
	v_mul_f32_e32 v49, v29, v66
	v_mul_f32_e32 v32, v21, v13
	;; [unrolled: 1-line block ×9, first 2 shown]
	v_fma_f32 v20, v20, v12, -v32
	v_mul_f32_e32 v55, v31, v68
	v_fmac_f32_e32 v33, v21, v12
	v_fma_f32 v21, v24, v14, -v34
	v_fma_f32 v24, v28, v65, -v49
	v_mul_f32_e32 v54, v26, v11
	v_mul_f32_e32 v69, v30, v68
	;; [unrolled: 1-line block ×4, first 2 shown]
	v_fmac_f32_e32 v35, v25, v14
	v_fmac_f32_e32 v50, v29, v65
	v_fma_f32 v22, v22, v8, -v51
	v_fmac_f32_e32 v52, v23, v8
	v_fma_f32 v23, v26, v10, -v53
	v_fma_f32 v25, v30, v67, -v55
	v_sub_f32_e32 v26, v16, v21
	v_sub_f32_e32 v21, v20, v24
	v_mul_f32_e32 v71, v42, v5
	v_mul_f32_e32 v73, v36, v7
	;; [unrolled: 1-line block ×3, first 2 shown]
	v_fmac_f32_e32 v54, v27, v10
	v_fmac_f32_e32 v69, v31, v67
	v_fma_f32 v32, v42, v4, -v70
	v_fma_f32 v42, v36, v6, -v72
	v_sub_f32_e32 v27, v17, v35
	v_sub_f32_e32 v24, v33, v50
	;; [unrolled: 1-line block ×4, first 2 shown]
	v_fma_f32 v16, v16, 2.0, -v26
	v_fma_f32 v28, v20, 2.0, -v21
	v_mul_f32_e32 v75, v38, v64
	v_fmac_f32_e32 v73, v37, v6
	v_fma_f32 v38, v38, v63, -v74
	v_sub_f32_e32 v37, v19, v54
	v_sub_f32_e32 v25, v52, v69
	v_fma_f32 v17, v17, 2.0, -v27
	v_fma_f32 v29, v33, 2.0, -v24
	v_sub_f32_e32 v20, v26, v24
	v_fma_f32 v18, v18, 2.0, -v36
	v_fma_f32 v30, v22, 2.0, -v23
	v_sub_f32_e32 v24, v16, v28
	v_fmac_f32_e32 v71, v43, v4
	v_fmac_f32_e32 v75, v39, v63
	v_fma_f32 v19, v19, 2.0, -v37
	v_fma_f32 v31, v52, 2.0, -v25
	v_sub_f32_e32 v22, v36, v25
	v_sub_f32_e32 v25, v17, v29
	;; [unrolled: 1-line block ×3, first 2 shown]
	v_fma_f32 v30, v16, 2.0, -v24
	v_sub_f32_e32 v16, v40, v42
	v_sub_f32_e32 v33, v32, v38
	;; [unrolled: 1-line block ×3, first 2 shown]
	v_fma_f32 v31, v17, 2.0, -v25
	v_fma_f32 v17, v40, 2.0, -v16
	v_sub_f32_e32 v40, v71, v75
	v_fma_f32 v32, v32, 2.0, -v33
	v_fma_f32 v39, v71, 2.0, -v40
	v_sub_f32_e32 v38, v17, v32
	v_sub_f32_e32 v32, v16, v40
	v_mul_u32_u24_e32 v40, 0x44, v44
	v_add_f32_e32 v21, v27, v21
	v_add_u32_e32 v40, v40, v45
	v_fma_f32 v26, v26, 2.0, -v20
	v_fma_f32 v27, v27, 2.0, -v21
	v_add_lshl_u32 v93, v46, v40, 3
	v_fma_f32 v34, v18, 2.0, -v28
	v_sub_f32_e32 v18, v41, v73
	ds_write2_b64 v93, v[30:31], v[26:27] offset1:17
	ds_write2_b64 v93, v[24:25], v[20:21] offset0:34 offset1:51
	v_mul_u32_u24_e32 v20, 0x44, v47
	v_fma_f32 v35, v19, 2.0, -v29
	v_add_f32_e32 v23, v37, v23
	v_fma_f32 v19, v41, 2.0, -v18
	v_add_u32_e32 v20, v20, v48
	v_fma_f32 v36, v36, 2.0, -v22
	v_fma_f32 v37, v37, 2.0, -v23
	v_sub_f32_e32 v39, v19, v39
	v_add_f32_e32 v33, v18, v33
	v_add_lshl_u32 v94, v46, v20, 3
	ds_write2_b64 v94, v[34:35], v[36:37] offset1:17
	ds_write2_b64 v94, v[28:29], v[22:23] offset0:34 offset1:51
	s_and_saveexec_b64 s[8:9], s[0:1]
	s_cbranch_execz .LBB0_11
; %bb.10:
	v_fma_f32 v20, v16, 2.0, -v32
	v_mul_u32_u24_e32 v16, 0x44, v91
	v_add_u32_e32 v16, v16, v92
	v_fma_f32 v21, v18, 2.0, -v33
	v_fma_f32 v18, v19, 2.0, -v39
	;; [unrolled: 1-line block ×3, first 2 shown]
	v_add_lshl_u32 v16, v46, v16, 3
	ds_write2_b64 v16, v[17:18], v[20:21] offset1:17
	ds_write2_b64 v16, v[38:39], v[32:33] offset0:34 offset1:51
.LBB0_11:
	s_or_b64 exec, exec, s[8:9]
	v_mov_b32_e32 v17, s3
	s_movk_i32 s8, 0x48
	v_mov_b32_e32 v16, s2
	v_mad_u64_u32 v[34:35], s[2:3], v85, s8, v[16:17]
	s_waitcnt lgkmcnt(0)
	s_barrier
	global_load_dwordx4 v[28:31], v[34:35], off offset:408
	global_load_dwordx4 v[24:27], v[34:35], off offset:424
	;; [unrolled: 1-line block ×4, first 2 shown]
	global_load_dwordx2 v[69:70], v[34:35], off offset:472
	v_add_u32_e32 v48, 0x800, v90
	v_add_u32_e32 v52, 0x1000, v90
	ds_read2_b64 v[34:37], v90 offset1:68
	ds_read2_b64 v[40:43], v90 offset0:136 offset1:204
	ds_read2_b64 v[44:47], v48 offset0:16 offset1:220
	;; [unrolled: 1-line block ×4, first 2 shown]
	s_mov_b32 s8, 0x3f737871
	s_mov_b32 s2, 0xbf737871
	;; [unrolled: 1-line block ×4, first 2 shown]
	s_movk_i32 s16, 0x1000
	s_waitcnt vmcnt(4) lgkmcnt(4)
	v_mul_f32_e32 v73, v36, v29
	s_waitcnt lgkmcnt(3)
	v_mul_f32_e32 v72, v41, v31
	v_mul_f32_e32 v74, v40, v31
	s_waitcnt vmcnt(3)
	v_mul_f32_e32 v76, v42, v25
	s_waitcnt lgkmcnt(2)
	v_mul_f32_e32 v77, v45, v27
	v_mul_f32_e32 v78, v44, v27
	s_waitcnt vmcnt(2) lgkmcnt(1)
	v_mul_f32_e32 v81, v51, v23
	s_waitcnt vmcnt(1) lgkmcnt(0)
	v_mul_f32_e32 v89, v53, v19
	v_mul_f32_e32 v71, v37, v29
	v_mul_f32_e32 v75, v43, v25
	v_mul_f32_e32 v79, v49, v21
	v_mul_f32_e32 v84, v46, v17
	v_mul_f32_e32 v95, v52, v19
	v_fmac_f32_e32 v73, v37, v28
	v_fma_f32 v37, v40, v30, -v72
	v_fmac_f32_e32 v74, v41, v30
	v_fmac_f32_e32 v76, v43, v24
	v_fma_f32 v41, v44, v26, -v77
	v_fmac_f32_e32 v78, v45, v26
	v_fma_f32 v43, v50, v22, -v81
	v_fma_f32 v45, v52, v18, -v89
	v_mul_f32_e32 v80, v48, v21
	v_mul_f32_e32 v82, v50, v23
	;; [unrolled: 1-line block ×3, first 2 shown]
	s_waitcnt vmcnt(0)
	v_mul_f32_e32 v96, v55, v70
	v_mul_f32_e32 v97, v54, v70
	v_fma_f32 v40, v42, v24, -v75
	v_fma_f32 v42, v48, v20, -v79
	v_fmac_f32_e32 v84, v47, v16
	v_fmac_f32_e32 v95, v53, v18
	v_add_f32_e32 v47, v34, v37
	v_add_f32_e32 v48, v41, v43
	;; [unrolled: 1-line block ×3, first 2 shown]
	v_fmac_f32_e32 v82, v51, v22
	v_fma_f32 v44, v46, v16, -v83
	v_fma_f32 v46, v54, v69, -v96
	v_fmac_f32_e32 v97, v55, v69
	v_sub_f32_e32 v51, v37, v41
	v_sub_f32_e32 v52, v45, v43
	;; [unrolled: 1-line block ×4, first 2 shown]
	v_add_f32_e32 v47, v47, v41
	v_fma_f32 v75, -0.5, v48, v34
	v_fma_f32 v34, -0.5, v53, v34
	v_sub_f32_e32 v50, v78, v82
	v_add_f32_e32 v48, v51, v52
	v_add_f32_e32 v51, v54, v55
	;; [unrolled: 1-line block ×3, first 2 shown]
	v_mov_b32_e32 v54, v34
	v_fmac_f32_e32 v80, v49, v20
	v_sub_f32_e32 v49, v74, v95
	v_fmac_f32_e32 v34, 0x3f737871, v50
	v_add_f32_e32 v55, v47, v45
	v_fmac_f32_e32 v54, 0xbf737871, v50
	v_add_f32_e32 v47, v78, v82
	v_fmac_f32_e32 v34, 0xbf167918, v49
	v_fmac_f32_e32 v54, 0x3f167918, v49
	v_fma_f32 v77, -0.5, v47, v35
	v_fmac_f32_e32 v34, 0x3e9e377a, v51
	v_fmac_f32_e32 v54, 0x3e9e377a, v51
	v_sub_f32_e32 v37, v37, v45
	v_mov_b32_e32 v51, v77
	v_fmac_f32_e32 v51, 0xbf737871, v37
	v_sub_f32_e32 v41, v41, v43
	v_sub_f32_e32 v43, v74, v78
	;; [unrolled: 1-line block ×3, first 2 shown]
	v_fmac_f32_e32 v77, 0x3f737871, v37
	v_fmac_f32_e32 v51, 0xbf167918, v41
	v_add_f32_e32 v43, v43, v45
	v_fmac_f32_e32 v77, 0x3f167918, v41
	v_fmac_f32_e32 v51, 0x3e9e377a, v43
	v_fmac_f32_e32 v77, 0x3e9e377a, v43
	v_add_f32_e32 v43, v74, v95
	v_fma_f32 v36, v36, v28, -v71
	v_add_f32_e32 v71, v35, v74
	v_fma_f32 v35, -0.5, v43, v35
	v_mov_b32_e32 v79, v35
	v_mov_b32_e32 v53, v75
	v_fmac_f32_e32 v79, 0x3f737871, v41
	v_sub_f32_e32 v43, v78, v74
	v_sub_f32_e32 v45, v82, v95
	v_fmac_f32_e32 v35, 0xbf737871, v41
	v_add_f32_e32 v41, v42, v44
	v_fmac_f32_e32 v75, 0xbf737871, v49
	v_fmac_f32_e32 v53, 0x3f737871, v49
	;; [unrolled: 1-line block ×3, first 2 shown]
	v_add_f32_e32 v43, v43, v45
	v_fmac_f32_e32 v35, 0x3f167918, v37
	v_fma_f32 v47, -0.5, v41, v36
	v_fmac_f32_e32 v75, 0xbf167918, v50
	v_fmac_f32_e32 v53, 0x3f167918, v50
	;; [unrolled: 1-line block ×4, first 2 shown]
	v_sub_f32_e32 v41, v76, v97
	v_mov_b32_e32 v43, v47
	v_fmac_f32_e32 v75, 0x3e9e377a, v48
	v_fmac_f32_e32 v53, 0x3e9e377a, v48
	;; [unrolled: 1-line block ×3, first 2 shown]
	v_sub_f32_e32 v45, v80, v84
	v_sub_f32_e32 v48, v40, v42
	;; [unrolled: 1-line block ×3, first 2 shown]
	v_fmac_f32_e32 v47, 0xbf737871, v41
	v_fmac_f32_e32 v43, 0x3f167918, v45
	v_add_f32_e32 v48, v48, v50
	v_fmac_f32_e32 v47, 0xbf167918, v45
	v_fmac_f32_e32 v43, 0x3e9e377a, v48
	;; [unrolled: 1-line block ×3, first 2 shown]
	v_add_f32_e32 v48, v40, v46
	v_add_f32_e32 v37, v36, v40
	v_fmac_f32_e32 v36, -0.5, v48
	v_mov_b32_e32 v48, v36
	v_fmac_f32_e32 v48, 0xbf737871, v45
	v_fmac_f32_e32 v36, 0x3f737871, v45
	v_add_f32_e32 v52, v71, v78
	v_fmac_f32_e32 v48, 0x3f167918, v41
	v_fmac_f32_e32 v36, 0xbf167918, v41
	v_add_f32_e32 v41, v73, v76
	v_add_f32_e32 v52, v52, v82
	;; [unrolled: 1-line block ×4, first 2 shown]
	v_sub_f32_e32 v50, v42, v40
	v_sub_f32_e32 v52, v44, v46
	v_add_f32_e32 v41, v41, v84
	v_add_f32_e32 v50, v50, v52
	;; [unrolled: 1-line block ×4, first 2 shown]
	v_fmac_f32_e32 v48, 0x3e9e377a, v50
	v_fmac_f32_e32 v36, 0x3e9e377a, v50
	v_fma_f32 v50, -0.5, v41, v73
	v_add_f32_e32 v37, v37, v42
	v_sub_f32_e32 v40, v40, v46
	v_mov_b32_e32 v41, v50
	v_add_f32_e32 v37, v37, v44
	v_fmac_f32_e32 v41, 0xbf737871, v40
	v_sub_f32_e32 v42, v42, v44
	v_sub_f32_e32 v44, v76, v80
	v_sub_f32_e32 v45, v97, v84
	v_fmac_f32_e32 v50, 0x3f737871, v40
	v_fmac_f32_e32 v41, 0xbf167918, v42
	v_add_f32_e32 v44, v44, v45
	v_fmac_f32_e32 v50, 0x3f167918, v42
	v_fmac_f32_e32 v41, 0x3e9e377a, v44
	;; [unrolled: 1-line block ×3, first 2 shown]
	v_add_f32_e32 v44, v76, v97
	v_fmac_f32_e32 v73, -0.5, v44
	v_mov_b32_e32 v45, v73
	v_add_f32_e32 v37, v37, v46
	v_fmac_f32_e32 v45, 0x3f737871, v42
	v_sub_f32_e32 v44, v80, v76
	v_sub_f32_e32 v46, v84, v97
	v_fmac_f32_e32 v73, 0xbf737871, v42
	v_fmac_f32_e32 v45, 0xbf167918, v40
	v_add_f32_e32 v44, v44, v46
	v_fmac_f32_e32 v73, 0x3f167918, v40
	v_fmac_f32_e32 v45, 0x3e9e377a, v44
	;; [unrolled: 1-line block ×3, first 2 shown]
	v_mul_f32_e32 v82, 0xbf737871, v48
	v_mul_f32_e32 v76, 0x3f737871, v45
	;; [unrolled: 1-line block ×3, first 2 shown]
	v_fmac_f32_e32 v82, 0x3e9e377a, v45
	v_mul_f32_e32 v45, 0x3e9e377a, v73
	v_mul_f32_e32 v52, 0x3f167918, v41
	v_fma_f32 v78, v73, s8, -v44
	v_mul_f32_e32 v46, 0x3f4f1bbd, v47
	v_fma_f32 v73, v36, s2, -v45
	v_mul_f32_e32 v36, 0x3f4f1bbd, v50
	v_fmac_f32_e32 v52, 0x3f4f1bbd, v43
	v_fmac_f32_e32 v76, 0x3e9e377a, v48
	v_fma_f32 v80, v50, s9, -v46
	v_mul_f32_e32 v81, 0xbf167918, v43
	v_fma_f32 v83, v47, s3, -v36
	v_lshl_add_u32 v89, v85, 3, v87
	v_add_f32_e32 v71, v55, v37
	v_add_f32_e32 v40, v53, v52
	;; [unrolled: 1-line block ×6, first 2 shown]
	v_fmac_f32_e32 v81, 0x3f4f1bbd, v41
	v_add_f32_e32 v45, v35, v73
	v_add_f32_e32 v47, v77, v83
	v_sub_f32_e32 v50, v53, v52
	v_sub_f32_e32 v52, v54, v76
	;; [unrolled: 1-line block ×3, first 2 shown]
	v_add_u32_e32 v34, 0x400, v89
	v_add_f32_e32 v41, v51, v81
	v_add_f32_e32 v43, v79, v82
	v_sub_f32_e32 v48, v55, v37
	v_sub_f32_e32 v36, v75, v80
	;; [unrolled: 1-line block ×7, first 2 shown]
	ds_write_b64 v89, v[71:72]
	ds_write2_b64 v89, v[40:41], v[42:43] offset0:68 offset1:136
	ds_write2_b64 v34, v[44:45], v[46:47] offset0:76 offset1:144
	v_add_u32_e32 v34, 0x800, v89
	v_add_u32_e32 v35, 0xc00, v89
	ds_write2_b64 v34, v[48:49], v[50:51] offset0:84 offset1:152
	ds_write2_b64 v35, v[52:53], v[54:55] offset0:92 offset1:160
	ds_write_b64 v89, v[36:37] offset:4896
	s_waitcnt lgkmcnt(0)
	s_barrier
	s_and_saveexec_b64 s[8:9], vcc
	s_cbranch_execz .LBB0_13
; %bb.12:
	s_add_u32 s10, s12, 0x1540
	s_addc_u32 s11, s13, 0
	global_load_dwordx2 v[73:74], v86, s[10:11]
	global_load_dwordx2 v[111:112], v86, s[10:11] offset:320
	global_load_dwordx2 v[113:114], v86, s[10:11] offset:640
	;; [unrolled: 1-line block ×12, first 2 shown]
	v_mov_b32_e32 v35, s11
	v_add_co_u32_e64 v75, s[2:3], s10, v86
	v_addc_co_u32_e64 v35, s[2:3], 0, v35, s[2:3]
	v_add_co_u32_e64 v75, s[2:3], s16, v75
	v_addc_co_u32_e64 v76, s[2:3], 0, v35, s[2:3]
	global_load_dwordx2 v[135:136], v[75:76], off offset:64
	global_load_dwordx2 v[137:138], v[75:76], off offset:384
	;; [unrolled: 1-line block ×3, first 2 shown]
	v_or_b32_e32 v35, 0x1400, v86
	global_load_dwordx2 v[141:142], v35, s[10:11]
	ds_read_b64 v[77:78], v89
	v_add_u32_e32 v145, 0x1000, v89
	s_waitcnt vmcnt(16) lgkmcnt(0)
	v_mul_f32_e32 v35, v78, v74
	v_mul_f32_e32 v75, v77, v74
	v_fma_f32 v74, v77, v73, -v35
	v_fmac_f32_e32 v75, v78, v73
	ds_write_b64 v89, v[74:75]
	ds_read2_b64 v[73:76], v89 offset0:40 offset1:80
	ds_read2_b64 v[77:80], v89 offset0:120 offset1:160
	;; [unrolled: 1-line block ×7, first 2 shown]
	s_waitcnt vmcnt(15) lgkmcnt(6)
	v_mul_f32_e32 v35, v74, v112
	v_mul_f32_e32 v144, v73, v112
	s_waitcnt vmcnt(14)
	v_mul_f32_e32 v146, v76, v114
	v_mul_f32_e32 v112, v75, v114
	s_waitcnt vmcnt(13) lgkmcnt(5)
	v_mul_f32_e32 v147, v78, v116
	v_mul_f32_e32 v114, v77, v116
	s_waitcnt vmcnt(12)
	v_mul_f32_e32 v148, v80, v118
	v_mul_f32_e32 v116, v79, v118
	;; [unrolled: 6-line block ×5, first 2 shown]
	s_waitcnt vmcnt(5) lgkmcnt(1)
	v_mul_f32_e32 v155, v104, v132
	v_mul_f32_e32 v130, v103, v132
	s_waitcnt vmcnt(4)
	v_mul_f32_e32 v132, v106, v134
	v_fma_f32 v143, v73, v111, -v35
	v_fmac_f32_e32 v144, v74, v111
	v_fma_f32 v111, v75, v113, -v146
	v_fmac_f32_e32 v112, v76, v113
	v_mul_f32_e32 v74, v105, v134
	v_fma_f32 v113, v77, v115, -v147
	v_fmac_f32_e32 v114, v78, v115
	v_fma_f32 v115, v79, v117, -v148
	v_fmac_f32_e32 v116, v80, v117
	v_fma_f32 v117, v81, v119, -v149
	v_fmac_f32_e32 v118, v82, v119
	v_fma_f32 v119, v83, v121, -v150
	v_fmac_f32_e32 v120, v84, v121
	v_fma_f32 v121, v95, v123, -v151
	v_fmac_f32_e32 v122, v96, v123
	v_fma_f32 v123, v97, v125, -v152
	v_fmac_f32_e32 v124, v98, v125
	v_fma_f32 v125, v99, v127, -v153
	v_fmac_f32_e32 v126, v100, v127
	v_fma_f32 v127, v101, v129, -v154
	v_fmac_f32_e32 v128, v102, v129
	v_fma_f32 v129, v103, v131, -v155
	v_fmac_f32_e32 v130, v104, v131
	ds_write2_b64 v89, v[143:144], v[111:112] offset0:40 offset1:80
	ds_write2_b64 v89, v[113:114], v[115:116] offset0:120 offset1:160
	ds_write2_b64 v89, v[117:118], v[119:120] offset0:200 offset1:240
	ds_write2_b64 v34, v[121:122], v[123:124] offset0:24 offset1:64
	ds_write2_b64 v34, v[125:126], v[127:128] offset0:104 offset1:144
	v_fma_f32 v73, v105, v133, -v132
	v_fmac_f32_e32 v74, v106, v133
	ds_write2_b64 v34, v[129:130], v[73:74] offset0:184 offset1:224
	ds_read2_b64 v[73:76], v145 offset0:88 offset1:128
	s_waitcnt vmcnt(3) lgkmcnt(7)
	v_mul_f32_e32 v34, v108, v136
	v_mul_f32_e32 v35, v107, v136
	s_waitcnt vmcnt(2)
	v_mul_f32_e32 v77, v110, v138
	v_mul_f32_e32 v78, v109, v138
	v_fma_f32 v34, v107, v135, -v34
	v_fmac_f32_e32 v35, v108, v135
	v_fma_f32 v77, v109, v137, -v77
	v_fmac_f32_e32 v78, v110, v137
	ds_write2_b64 v145, v[34:35], v[77:78] offset0:8 offset1:48
	s_waitcnt vmcnt(1) lgkmcnt(1)
	v_mul_f32_e32 v34, v74, v140
	v_mul_f32_e32 v35, v73, v140
	v_fma_f32 v34, v73, v139, -v34
	v_fmac_f32_e32 v35, v74, v139
	s_waitcnt vmcnt(0)
	v_mul_f32_e32 v73, v76, v142
	v_mul_f32_e32 v74, v75, v142
	v_fma_f32 v73, v75, v141, -v73
	v_fmac_f32_e32 v74, v76, v141
	ds_write2_b64 v145, v[34:35], v[73:74] offset0:88 offset1:128
.LBB0_13:
	s_or_b64 exec, exec, s[8:9]
	s_waitcnt lgkmcnt(0)
	s_barrier
	s_and_saveexec_b64 s[2:3], vcc
	s_cbranch_execz .LBB0_15
; %bb.14:
	ds_read_b64 v[71:72], v89
	ds_read2_b64 v[40:43], v89 offset0:40 offset1:80
	ds_read2_b64 v[44:47], v89 offset0:120 offset1:160
	ds_read2_b64 v[48:51], v89 offset0:200 offset1:240
	v_add_u32_e32 v0, 0x800, v89
	ds_read2_b64 v[52:55], v0 offset0:24 offset1:64
	ds_read2_b64 v[32:35], v0 offset0:184 offset1:224
	v_add_u32_e32 v1, 0x1000, v89
	ds_read2_b64 v[73:76], v1 offset0:8 offset1:48
	ds_read2_b64 v[36:39], v0 offset0:104 offset1:144
	;; [unrolled: 1-line block ×3, first 2 shown]
	s_waitcnt lgkmcnt(2)
	v_mov_b32_e32 v59, v73
	v_mov_b32_e32 v61, v34
	;; [unrolled: 1-line block ×6, first 2 shown]
.LBB0_15:
	s_or_b64 exec, exec, s[2:3]
	s_waitcnt lgkmcnt(0)
	v_sub_f32_e32 v111, v41, v3
	v_add_f32_e32 v95, v2, v40
	v_add_f32_e32 v112, v3, v41
	s_mov_b32 s8, 0xbf1a4643
	v_mul_f32_e32 v81, 0xbf4c4adb, v111
	v_mul_f32_e32 v82, 0xbf1a4643, v112
	v_fma_f32 v34, v95, s8, -v81
	v_sub_f32_e32 v113, v43, v1
	v_sub_f32_e32 v96, v40, v2
	v_add_f32_e32 v73, v71, v34
	v_mov_b32_e32 v34, v82
	v_add_f32_e32 v97, v0, v42
	v_add_f32_e32 v114, v1, v43
	s_mov_b32 s11, 0xbe8c1d8e
	v_mul_f32_e32 v83, 0x3f763a35, v113
	v_fmac_f32_e32 v34, 0xbf4c4adb, v96
	v_mul_f32_e32 v84, 0xbe8c1d8e, v114
	v_fma_f32 v99, v97, s11, -v83
	v_add_f32_e32 v74, v72, v34
	s_mov_b32 s9, 0xbf59a7d5
	v_mul_f32_e32 v34, 0xbf06c442, v111
	v_sub_f32_e32 v98, v42, v0
	v_add_f32_e32 v73, v99, v73
	v_mov_b32_e32 v99, v84
	v_mul_f32_e32 v35, 0xbf59a7d5, v112
	v_fma_f32 v75, v95, s9, -v34
	v_fmac_f32_e32 v99, 0x3f763a35, v98
	s_mov_b32 s16, 0x3ee437d1
	v_mul_f32_e32 v128, 0x3f65296c, v113
	v_add_f32_e32 v75, v71, v75
	v_mov_b32_e32 v76, v35
	v_add_f32_e32 v74, v99, v74
	v_mul_f32_e32 v130, 0x3ee437d1, v114
	v_fma_f32 v99, v97, s16, -v128
	v_fmac_f32_e32 v76, 0xbf06c442, v96
	v_add_f32_e32 v75, v99, v75
	v_mov_b32_e32 v99, v130
	v_add_f32_e32 v76, v72, v76
	v_mul_f32_e32 v77, 0xbe3c28d5, v111
	v_fmac_f32_e32 v99, 0x3f65296c, v98
	v_mov_b32_e32 v78, v77
	v_add_f32_e32 v76, v99, v76
	v_mul_f32_e32 v99, 0x3eb8f4ab, v113
	v_fmac_f32_e32 v78, 0xbf7ba420, v95
	v_mov_b32_e32 v100, v99
	s_mov_b32 s10, 0xbf7ba420
	v_add_f32_e32 v78, v71, v78
	v_mul_f32_e32 v79, 0xbf7ba420, v112
	v_fmac_f32_e32 v100, 0x3f6eb680, v97
	v_mov_b32_e32 v80, v79
	v_fma_f32 v77, v95, s10, -v77
	s_mov_b32 s17, 0x3f6eb680
	v_add_f32_e32 v78, v100, v78
	v_mul_f32_e32 v100, 0x3f6eb680, v114
	v_fmac_f32_e32 v80, 0x3e3c28d5, v96
	v_add_f32_e32 v77, v71, v77
	v_mov_b32_e32 v101, v100
	v_fma_f32 v99, v97, s17, -v99
	v_sub_f32_e32 v115, v45, v58
	v_add_f32_e32 v80, v72, v80
	v_fmac_f32_e32 v79, 0xbe3c28d5, v96
	v_fmac_f32_e32 v101, 0xbeb8f4ab, v98
	v_add_f32_e32 v77, v99, v77
	v_add_f32_e32 v99, v57, v44
	;; [unrolled: 1-line block ×3, first 2 shown]
	v_mul_f32_e32 v127, 0xbeb8f4ab, v115
	v_add_f32_e32 v79, v72, v79
	v_add_f32_e32 v80, v101, v80
	v_fmac_f32_e32 v100, 0x3eb8f4ab, v98
	v_mul_f32_e32 v129, 0x3f6eb680, v117
	v_fma_f32 v101, v99, s17, -v127
	v_add_f32_e32 v79, v100, v79
	v_sub_f32_e32 v100, v44, v57
	v_add_f32_e32 v73, v101, v73
	v_mov_b32_e32 v101, v129
	v_fmac_f32_e32 v101, 0xbeb8f4ab, v100
	s_mov_b32 s18, 0x3dbcf732
	v_mul_f32_e32 v132, 0xbf7ee86f, v115
	v_add_f32_e32 v74, v101, v74
	v_mul_f32_e32 v134, 0x3dbcf732, v117
	v_fma_f32 v101, v99, s18, -v132
	v_add_f32_e32 v75, v101, v75
	v_mov_b32_e32 v101, v134
	v_fmac_f32_e32 v101, 0xbf7ee86f, v100
	v_add_f32_e32 v76, v101, v76
	v_mul_f32_e32 v101, 0xbf06c442, v115
	v_mov_b32_e32 v102, v101
	v_fmac_f32_e32 v102, 0xbf59a7d5, v99
	v_add_f32_e32 v78, v102, v78
	v_mul_f32_e32 v102, 0xbf59a7d5, v117
	v_mov_b32_e32 v103, v102
	v_fma_f32 v101, v99, s9, -v101
	v_sub_f32_e32 v116, v47, v60
	v_fmac_f32_e32 v103, 0x3f06c442, v100
	v_add_f32_e32 v77, v101, v77
	v_add_f32_e32 v101, v59, v46
	;; [unrolled: 1-line block ×3, first 2 shown]
	v_mul_f32_e32 v131, 0xbf06c442, v116
	v_add_f32_e32 v80, v103, v80
	v_fmac_f32_e32 v102, 0xbf06c442, v100
	v_mul_f32_e32 v133, 0xbf59a7d5, v119
	v_fma_f32 v103, v101, s9, -v131
	v_add_f32_e32 v79, v102, v79
	v_sub_f32_e32 v102, v46, v59
	v_add_f32_e32 v73, v103, v73
	v_mov_b32_e32 v103, v133
	v_fmac_f32_e32 v103, 0xbf06c442, v102
	v_mul_f32_e32 v136, 0x3f4c4adb, v116
	v_add_f32_e32 v74, v103, v74
	v_mul_f32_e32 v138, 0xbf1a4643, v119
	v_fma_f32 v103, v101, s8, -v136
	v_add_f32_e32 v75, v103, v75
	v_mov_b32_e32 v103, v138
	v_fmac_f32_e32 v103, 0x3f4c4adb, v102
	v_add_f32_e32 v76, v103, v76
	v_mul_f32_e32 v103, 0x3f2c7751, v116
	v_mov_b32_e32 v104, v103
	v_fmac_f32_e32 v104, 0x3f3d2fb0, v101
	s_mov_b32 s19, 0x3f3d2fb0
	v_add_f32_e32 v78, v104, v78
	v_mul_f32_e32 v104, 0x3f3d2fb0, v119
	v_mov_b32_e32 v105, v104
	v_fma_f32 v103, v101, s19, -v103
	v_sub_f32_e32 v118, v49, v62
	v_fmac_f32_e32 v105, 0xbf2c7751, v102
	v_add_f32_e32 v77, v103, v77
	v_add_f32_e32 v103, v61, v48
	;; [unrolled: 1-line block ×3, first 2 shown]
	v_mul_f32_e32 v135, 0x3f7ee86f, v118
	v_add_f32_e32 v80, v105, v80
	v_fmac_f32_e32 v104, 0x3f2c7751, v102
	v_mul_f32_e32 v137, 0x3dbcf732, v121
	v_fma_f32 v105, v103, s18, -v135
	v_add_f32_e32 v79, v104, v79
	v_sub_f32_e32 v104, v48, v61
	v_add_f32_e32 v73, v105, v73
	v_mov_b32_e32 v105, v137
	v_fmac_f32_e32 v105, 0x3f7ee86f, v104
	v_mul_f32_e32 v140, 0xbeb8f4ab, v118
	v_add_f32_e32 v74, v105, v74
	v_mul_f32_e32 v142, 0x3f6eb680, v121
	v_fma_f32 v105, v103, s17, -v140
	v_add_f32_e32 v75, v105, v75
	v_mov_b32_e32 v105, v142
	v_fmac_f32_e32 v105, 0xbeb8f4ab, v104
	v_add_f32_e32 v76, v105, v76
	v_mul_f32_e32 v105, 0xbf4c4adb, v118
	v_mov_b32_e32 v106, v105
	v_fmac_f32_e32 v106, 0xbf1a4643, v103
	v_add_f32_e32 v78, v106, v78
	v_mul_f32_e32 v106, 0xbf1a4643, v121
	v_mov_b32_e32 v107, v106
	v_fma_f32 v105, v103, s8, -v105
	v_sub_f32_e32 v120, v51, v33
	v_fmac_f32_e32 v107, 0x3f4c4adb, v104
	v_add_f32_e32 v77, v105, v77
	v_add_f32_e32 v105, v32, v50
	;; [unrolled: 1-line block ×3, first 2 shown]
	v_mul_f32_e32 v139, 0xbf2c7751, v120
	v_add_f32_e32 v80, v107, v80
	v_fmac_f32_e32 v106, 0xbf4c4adb, v104
	v_mul_f32_e32 v141, 0x3f3d2fb0, v123
	v_fma_f32 v107, v105, s19, -v139
	v_add_f32_e32 v79, v106, v79
	v_sub_f32_e32 v106, v50, v32
	v_add_f32_e32 v73, v107, v73
	v_mov_b32_e32 v107, v141
	v_fmac_f32_e32 v107, 0xbf2c7751, v106
	v_mul_f32_e32 v144, 0xbe3c28d5, v120
	v_add_f32_e32 v74, v107, v74
	v_mul_f32_e32 v146, 0xbf7ba420, v123
	v_fma_f32 v107, v105, s10, -v144
	v_add_f32_e32 v75, v107, v75
	v_mov_b32_e32 v107, v146
	v_fmac_f32_e32 v107, 0xbe3c28d5, v106
	v_add_f32_e32 v76, v107, v76
	v_mul_f32_e32 v107, 0x3f65296c, v120
	v_mov_b32_e32 v108, v107
	v_fmac_f32_e32 v108, 0x3ee437d1, v105
	v_add_f32_e32 v78, v108, v78
	v_mul_f32_e32 v108, 0x3ee437d1, v123
	v_mov_b32_e32 v109, v108
	v_fma_f32 v107, v105, s16, -v107
	v_sub_f32_e32 v122, v53, v39
	v_fmac_f32_e32 v109, 0xbf65296c, v106
	v_add_f32_e32 v77, v107, v77
	v_add_f32_e32 v107, v38, v52
	;; [unrolled: 1-line block ×3, first 2 shown]
	v_mul_f32_e32 v143, 0xbe3c28d5, v122
	v_add_f32_e32 v80, v109, v80
	v_fmac_f32_e32 v108, 0x3f65296c, v106
	v_mul_f32_e32 v145, 0xbf7ba420, v125
	v_fma_f32 v109, v107, s10, -v143
	v_add_f32_e32 v79, v108, v79
	v_sub_f32_e32 v108, v52, v38
	v_add_f32_e32 v73, v109, v73
	v_mov_b32_e32 v109, v145
	v_fmac_f32_e32 v109, 0xbe3c28d5, v108
	v_mul_f32_e32 v148, 0x3f2c7751, v122
	v_add_f32_e32 v74, v109, v74
	v_mul_f32_e32 v150, 0x3f3d2fb0, v125
	v_fma_f32 v109, v107, s19, -v148
	v_add_f32_e32 v153, v109, v75
	v_mov_b32_e32 v75, v150
	v_fmac_f32_e32 v75, 0x3f2c7751, v108
	v_add_f32_e32 v154, v75, v76
	v_mul_f32_e32 v75, 0xbf763a35, v122
	v_sub_f32_e32 v124, v55, v37
	v_mov_b32_e32 v76, v75
	v_fma_f32 v75, v107, s11, -v75
	v_add_f32_e32 v109, v36, v54
	v_add_f32_e32 v126, v37, v55
	v_mul_f32_e32 v147, 0x3f65296c, v124
	v_fmac_f32_e32 v76, 0xbe8c1d8e, v107
	v_add_f32_e32 v156, v75, v77
	v_mul_f32_e32 v149, 0x3ee437d1, v126
	v_fma_f32 v75, v109, s16, -v147
	v_add_f32_e32 v155, v76, v78
	v_mul_f32_e32 v76, 0xbe8c1d8e, v125
	v_sub_f32_e32 v110, v54, v36
	v_add_f32_e32 v75, v75, v73
	v_mov_b32_e32 v73, v149
	v_mov_b32_e32 v78, v76
	v_fmac_f32_e32 v76, 0xbf763a35, v108
	v_fmac_f32_e32 v73, 0x3f65296c, v110
	v_mul_f32_e32 v151, 0xbf763a35, v124
	v_add_f32_e32 v157, v76, v79
	v_add_f32_e32 v76, v73, v74
	v_mul_f32_e32 v152, 0xbe8c1d8e, v126
	v_fma_f32 v73, v109, s11, -v151
	v_add_f32_e32 v77, v73, v153
	v_mov_b32_e32 v73, v152
	v_fmac_f32_e32 v78, 0x3f763a35, v108
	v_fmac_f32_e32 v73, 0xbf763a35, v110
	v_mul_f32_e32 v79, 0x3f7ee86f, v124
	v_mul_f32_e32 v153, 0x3dbcf732, v126
	v_add_f32_e32 v80, v78, v80
	v_add_f32_e32 v78, v73, v154
	v_mov_b32_e32 v73, v79
	v_mov_b32_e32 v74, v153
	v_fmac_f32_e32 v73, 0x3dbcf732, v109
	v_fmac_f32_e32 v74, 0xbf7ee86f, v110
	v_fma_f32 v79, v109, s18, -v79
	v_fmac_f32_e32 v153, 0x3f7ee86f, v110
	v_add_f32_e32 v73, v73, v155
	v_add_f32_e32 v74, v74, v80
	;; [unrolled: 1-line block ×4, first 2 shown]
	s_barrier
	s_and_saveexec_b64 s[2:3], vcc
	s_cbranch_execz .LBB0_17
; %bb.16:
	v_mul_f32_e32 v153, 0xbf1a4643, v95
	v_mul_f32_e32 v154, 0xbf4c4adb, v96
	;; [unrolled: 1-line block ×3, first 2 shown]
	v_add_f32_e32 v81, v153, v81
	v_mul_f32_e32 v158, 0x3f763a35, v98
	v_mul_f32_e32 v161, 0x3f6eb680, v99
	v_sub_f32_e32 v82, v82, v154
	v_add_f32_e32 v81, v71, v81
	v_add_f32_e32 v83, v157, v83
	v_mul_f32_e32 v162, 0xbeb8f4ab, v100
	v_mul_f32_e32 v165, 0xbf59a7d5, v101
	v_add_f32_e32 v82, v72, v82
	v_sub_f32_e32 v84, v84, v158
	v_add_f32_e32 v81, v83, v81
	v_add_f32_e32 v83, v161, v127
	v_mul_f32_e32 v166, 0xbf06c442, v102
	v_mul_f32_e32 v169, 0x3dbcf732, v103
	v_add_f32_e32 v82, v84, v82
	;; [unrolled: 6-line block ×3, first 2 shown]
	v_sub_f32_e32 v84, v133, v166
	v_add_f32_e32 v81, v83, v81
	v_add_f32_e32 v83, v169, v135
	v_mul_f32_e32 v156, 0xbf06c442, v96
	v_mul_f32_e32 v174, 0xbf2c7751, v106
	;; [unrolled: 1-line block ×3, first 2 shown]
	v_add_f32_e32 v82, v84, v82
	v_sub_f32_e32 v84, v137, v170
	v_add_f32_e32 v81, v83, v81
	v_add_f32_e32 v83, v173, v139
	v_mul_f32_e32 v160, 0x3f65296c, v98
	v_mul_f32_e32 v178, 0xbe3c28d5, v108
	;; [unrolled: 1-line block ×3, first 2 shown]
	v_sub_f32_e32 v35, v35, v156
	v_add_f32_e32 v82, v84, v82
	v_sub_f32_e32 v84, v141, v174
	v_add_f32_e32 v81, v83, v81
	v_add_f32_e32 v83, v177, v143
	v_mul_f32_e32 v164, 0xbf7ee86f, v100
	v_mul_f32_e32 v182, 0x3f65296c, v110
	v_add_f32_e32 v35, v72, v35
	v_sub_f32_e32 v130, v130, v160
	v_add_f32_e32 v82, v84, v82
	v_sub_f32_e32 v84, v145, v178
	v_add_f32_e32 v81, v83, v81
	v_add_f32_e32 v83, v181, v147
	v_mul_f32_e32 v133, 0xbe8c1d8e, v112
	v_mul_f32_e32 v155, 0xbf59a7d5, v95
	v_add_f32_e32 v35, v130, v35
	v_sub_f32_e32 v130, v134, v164
	v_add_f32_e32 v82, v84, v82
	v_sub_f32_e32 v84, v149, v182
	v_add_f32_e32 v81, v83, v81
	v_mov_b32_e32 v83, v133
	v_mul_f32_e32 v134, 0xbf59a7d5, v114
	v_mul_f32_e32 v159, 0x3ee437d1, v97
	v_add_f32_e32 v34, v155, v34
	v_add_f32_e32 v82, v84, v82
	v_fmac_f32_e32 v83, 0x3f763a35, v96
	v_mov_b32_e32 v84, v134
	v_mul_f32_e32 v163, 0x3dbcf732, v99
	v_add_f32_e32 v34, v71, v34
	v_add_f32_e32 v128, v159, v128
	;; [unrolled: 1-line block ×3, first 2 shown]
	v_fmac_f32_e32 v84, 0xbf06c442, v98
	v_mul_f32_e32 v135, 0x3f3d2fb0, v117
	v_mul_f32_e32 v167, 0xbf1a4643, v101
	v_add_f32_e32 v34, v128, v34
	v_add_f32_e32 v128, v163, v132
	v_add_f32_e32 v83, v84, v83
	v_mov_b32_e32 v84, v135
	v_add_f32_e32 v34, v128, v34
	v_add_f32_e32 v128, v167, v136
	v_fmac_f32_e32 v84, 0xbf2c7751, v100
	v_mul_f32_e32 v136, 0x3ee437d1, v119
	v_add_f32_e32 v83, v84, v83
	v_mov_b32_e32 v84, v136
	v_fmac_f32_e32 v84, 0x3f65296c, v102
	v_mul_f32_e32 v137, 0xbf7ba420, v121
	v_mul_f32_e32 v168, 0x3f4c4adb, v102
	v_add_f32_e32 v83, v84, v83
	v_mov_b32_e32 v84, v137
	v_add_f32_e32 v35, v130, v35
	v_sub_f32_e32 v130, v138, v168
	v_fmac_f32_e32 v84, 0x3e3c28d5, v104
	v_mul_f32_e32 v138, 0x3dbcf732, v123
	v_add_f32_e32 v83, v84, v83
	v_mov_b32_e32 v84, v138
	v_fmac_f32_e32 v84, 0xbf7ee86f, v106
	v_mul_f32_e32 v139, 0x3f6eb680, v125
	v_mul_f32_e32 v171, 0x3f6eb680, v103
	v_add_f32_e32 v83, v84, v83
	v_mov_b32_e32 v84, v139
	v_add_f32_e32 v34, v128, v34
	v_add_f32_e32 v128, v171, v140
	v_fmac_f32_e32 v84, 0x3eb8f4ab, v108
	v_mul_f32_e32 v140, 0xbf1a4643, v126
	v_add_f32_e32 v83, v84, v83
	v_mov_b32_e32 v84, v140
	v_mul_f32_e32 v172, 0xbeb8f4ab, v104
	v_fmac_f32_e32 v84, 0x3f4c4adb, v110
	v_mul_f32_e32 v141, 0xbf763a35, v111
	v_add_f32_e32 v35, v130, v35
	v_sub_f32_e32 v130, v142, v172
	v_add_f32_e32 v84, v84, v83
	v_mov_b32_e32 v83, v141
	v_mul_f32_e32 v142, 0x3f06c442, v113
	v_fmac_f32_e32 v83, 0xbe8c1d8e, v95
	v_mov_b32_e32 v127, v142
	v_add_f32_e32 v83, v71, v83
	v_fmac_f32_e32 v127, 0xbf59a7d5, v97
	v_mul_f32_e32 v143, 0x3f2c7751, v115
	v_mul_f32_e32 v175, 0xbf7ba420, v105
	v_add_f32_e32 v83, v127, v83
	v_mov_b32_e32 v127, v143
	v_add_f32_e32 v34, v128, v34
	v_add_f32_e32 v128, v175, v144
	v_fmac_f32_e32 v127, 0x3f3d2fb0, v99
	v_mul_f32_e32 v144, 0xbf65296c, v116
	v_add_f32_e32 v83, v127, v83
	v_mov_b32_e32 v127, v144
	v_fmac_f32_e32 v127, 0x3ee437d1, v101
	v_mul_f32_e32 v145, 0xbe3c28d5, v118
	v_mul_f32_e32 v176, 0xbe3c28d5, v106
	v_add_f32_e32 v83, v127, v83
	v_mov_b32_e32 v127, v145
	v_add_f32_e32 v35, v130, v35
	v_sub_f32_e32 v130, v146, v176
	v_fmac_f32_e32 v127, 0xbf7ba420, v103
	v_mul_f32_e32 v146, 0x3f7ee86f, v120
	v_add_f32_e32 v83, v127, v83
	v_mov_b32_e32 v127, v146
	v_fmac_f32_e32 v127, 0x3dbcf732, v105
	v_mul_f32_e32 v147, 0xbeb8f4ab, v122
	v_mul_f32_e32 v179, 0x3f3d2fb0, v107
	v_add_f32_e32 v83, v127, v83
	v_mov_b32_e32 v127, v147
	v_add_f32_e32 v34, v128, v34
	v_add_f32_e32 v128, v179, v148
	v_fmac_f32_e32 v127, 0x3f6eb680, v107
	v_mul_f32_e32 v148, 0xbf4c4adb, v124
	v_add_f32_e32 v83, v127, v83
	v_mov_b32_e32 v127, v148
	v_mul_f32_e32 v180, 0x3f2c7751, v108
	v_mul_f32_e32 v183, 0xbe8c1d8e, v109
	v_fmac_f32_e32 v127, 0xbf1a4643, v109
	v_mul_f32_e32 v149, 0x3dbcf732, v112
	v_add_f32_e32 v35, v130, v35
	v_sub_f32_e32 v130, v150, v180
	v_add_f32_e32 v34, v128, v34
	v_add_f32_e32 v128, v183, v151
	;; [unrolled: 1-line block ×3, first 2 shown]
	v_mov_b32_e32 v127, v149
	v_mul_f32_e32 v150, 0xbf7ba420, v114
	v_add_f32_e32 v34, v128, v34
	v_fmac_f32_e32 v127, 0x3f7ee86f, v96
	v_mov_b32_e32 v128, v150
	v_add_f32_e32 v127, v72, v127
	v_fmac_f32_e32 v128, 0x3e3c28d5, v98
	v_mul_f32_e32 v151, 0xbe8c1d8e, v117
	v_mul_f32_e32 v184, 0xbf763a35, v110
	v_add_f32_e32 v127, v128, v127
	v_mov_b32_e32 v128, v151
	v_add_f32_e32 v35, v130, v35
	v_sub_f32_e32 v130, v152, v184
	v_fmac_f32_e32 v128, 0xbf763a35, v100
	v_mul_f32_e32 v152, 0x3f6eb680, v119
	v_add_f32_e32 v127, v128, v127
	v_mov_b32_e32 v128, v152
	v_fmac_f32_e32 v128, 0xbeb8f4ab, v102
	v_mul_f32_e32 v153, 0x3ee437d1, v121
	v_add_f32_e32 v127, v128, v127
	v_mov_b32_e32 v128, v153
	v_fmac_f32_e32 v128, 0x3f65296c, v104
	v_mul_f32_e32 v154, 0xbf59a7d5, v123
	v_add_f32_e32 v127, v128, v127
	v_mov_b32_e32 v128, v154
	v_fmac_f32_e32 v128, 0x3f06c442, v106
	v_mul_f32_e32 v155, 0xbf1a4643, v125
	v_add_f32_e32 v127, v128, v127
	v_mov_b32_e32 v128, v155
	v_fmac_f32_e32 v128, 0xbf4c4adb, v108
	v_mul_f32_e32 v156, 0x3f3d2fb0, v126
	v_add_f32_e32 v127, v128, v127
	v_mov_b32_e32 v128, v156
	v_fmac_f32_e32 v128, 0xbf2c7751, v110
	v_mul_f32_e32 v157, 0xbf7ee86f, v111
	v_add_f32_e32 v128, v128, v127
	v_mov_b32_e32 v127, v157
	v_mul_f32_e32 v158, 0xbe3c28d5, v113
	v_fmac_f32_e32 v127, 0x3dbcf732, v95
	v_mov_b32_e32 v129, v158
	v_add_f32_e32 v127, v71, v127
	v_fmac_f32_e32 v129, 0xbf7ba420, v97
	v_mul_f32_e32 v159, 0x3f763a35, v115
	v_add_f32_e32 v127, v129, v127
	v_mov_b32_e32 v129, v159
	v_fmac_f32_e32 v129, 0xbe8c1d8e, v99
	v_mul_f32_e32 v160, 0x3eb8f4ab, v116
	v_add_f32_e32 v127, v129, v127
	v_mov_b32_e32 v129, v160
	;; [unrolled: 4-line block ×3, first 2 shown]
	v_fmac_f32_e32 v129, 0x3ee437d1, v103
	v_mul_f32_e32 v162, 0xbf06c442, v120
	v_add_f32_e32 v41, v41, v72
	v_add_f32_e32 v127, v129, v127
	v_mov_b32_e32 v129, v162
	v_add_f32_e32 v41, v43, v41
	v_fmac_f32_e32 v129, 0xbf59a7d5, v105
	v_mul_f32_e32 v163, 0x3f4c4adb, v122
	v_add_f32_e32 v41, v45, v41
	v_add_f32_e32 v127, v129, v127
	v_mov_b32_e32 v129, v163
	v_add_f32_e32 v41, v47, v41
	;; [unrolled: 6-line block ×3, first 2 shown]
	v_fmac_f32_e32 v129, 0x3f3d2fb0, v109
	v_mul_f32_e32 v165, 0x3ee437d1, v112
	v_add_f32_e32 v41, v53, v41
	v_add_f32_e32 v127, v129, v127
	v_mov_b32_e32 v129, v165
	v_mul_f32_e32 v166, 0xbf1a4643, v114
	v_add_f32_e32 v41, v55, v41
	v_add_f32_e32 v35, v130, v35
	v_fmac_f32_e32 v129, 0x3f65296c, v96
	v_mov_b32_e32 v130, v166
	v_add_f32_e32 v37, v37, v41
	v_add_f32_e32 v129, v72, v129
	v_fmac_f32_e32 v130, 0x3f4c4adb, v98
	v_mul_f32_e32 v167, 0xbf7ba420, v117
	v_add_f32_e32 v37, v39, v37
	v_add_f32_e32 v129, v130, v129
	v_mov_b32_e32 v130, v167
	v_add_f32_e32 v33, v33, v37
	v_fmac_f32_e32 v130, 0xbe3c28d5, v100
	v_mul_f32_e32 v168, 0xbe8c1d8e, v119
	v_add_f32_e32 v33, v62, v33
	v_add_f32_e32 v129, v130, v129
	v_mov_b32_e32 v130, v168
	;; [unrolled: 6-line block ×3, first 2 shown]
	v_add_f32_e32 v1, v1, v33
	v_fmac_f32_e32 v130, 0xbf2c7751, v104
	v_mul_f32_e32 v170, 0x3f6eb680, v123
	v_add_f32_e32 v1, v3, v1
	v_add_f32_e32 v3, v40, v71
	;; [unrolled: 1-line block ×3, first 2 shown]
	v_mov_b32_e32 v130, v170
	v_add_f32_e32 v3, v42, v3
	v_fmac_f32_e32 v130, 0x3eb8f4ab, v106
	v_mul_f32_e32 v171, 0x3dbcf732, v125
	v_add_f32_e32 v3, v44, v3
	v_add_f32_e32 v129, v130, v129
	v_mov_b32_e32 v130, v171
	v_add_f32_e32 v3, v46, v3
	v_fmac_f32_e32 v130, 0x3f7ee86f, v108
	v_mul_f32_e32 v172, 0xbf59a7d5, v126
	v_add_f32_e32 v3, v48, v3
	v_add_f32_e32 v129, v130, v129
	;; [unrolled: 6-line block ×3, first 2 shown]
	v_mov_b32_e32 v129, v173
	v_mul_f32_e32 v174, 0xbf4c4adb, v113
	v_add_f32_e32 v3, v54, v3
	v_fmac_f32_e32 v129, 0x3ee437d1, v95
	v_mov_b32_e32 v131, v174
	v_add_f32_e32 v3, v36, v3
	v_add_f32_e32 v129, v71, v129
	v_fmac_f32_e32 v131, 0xbf1a4643, v97
	v_mul_f32_e32 v175, 0x3e3c28d5, v115
	v_add_f32_e32 v3, v38, v3
	v_add_f32_e32 v129, v131, v129
	v_mov_b32_e32 v131, v175
	v_add_f32_e32 v3, v32, v3
	v_fmac_f32_e32 v131, 0xbf7ba420, v99
	v_mul_f32_e32 v176, 0x3f763a35, v116
	v_add_f32_e32 v3, v61, v3
	v_add_f32_e32 v129, v131, v129
	v_mov_b32_e32 v131, v176
	;; [unrolled: 6-line block ×3, first 2 shown]
	v_add_f32_e32 v0, v0, v3
	v_fmac_f32_e32 v133, 0xbf763a35, v96
	v_fmac_f32_e32 v131, 0x3f3d2fb0, v103
	v_mul_f32_e32 v178, 0xbeb8f4ab, v120
	v_add_f32_e32 v0, v2, v0
	v_add_f32_e32 v2, v72, v133
	v_fmac_f32_e32 v134, 0x3f06c442, v98
	v_add_f32_e32 v129, v131, v129
	v_mov_b32_e32 v131, v178
	v_add_f32_e32 v2, v134, v2
	v_fmac_f32_e32 v135, 0x3f2c7751, v100
	v_fmac_f32_e32 v131, 0x3f6eb680, v105
	v_mul_f32_e32 v179, 0xbf7ee86f, v122
	v_add_f32_e32 v2, v135, v2
	v_fmac_f32_e32 v136, 0xbf65296c, v102
	v_add_f32_e32 v129, v131, v129
	v_mov_b32_e32 v131, v179
	v_add_f32_e32 v2, v136, v2
	v_fmac_f32_e32 v137, 0xbe3c28d5, v104
	v_fmac_f32_e32 v131, 0x3dbcf732, v107
	v_mul_f32_e32 v180, 0xbf06c442, v124
	;; [unrolled: 8-line block ×3, first 2 shown]
	v_add_f32_e32 v2, v139, v2
	v_fmac_f32_e32 v140, 0xbf4c4adb, v110
	v_add_f32_e32 v129, v131, v129
	v_mov_b32_e32 v131, v181
	v_mul_f32_e32 v182, 0x3dbcf732, v114
	v_add_f32_e32 v3, v140, v2
	v_fma_f32 v2, v95, s11, -v141
	v_fmac_f32_e32 v131, 0x3f2c7751, v96
	v_mov_b32_e32 v132, v182
	v_add_f32_e32 v2, v71, v2
	v_fma_f32 v32, v97, s9, -v142
	v_add_f32_e32 v131, v72, v131
	v_fmac_f32_e32 v132, 0x3f7ee86f, v98
	v_mul_f32_e32 v183, 0xbf1a4643, v117
	v_add_f32_e32 v2, v32, v2
	v_fma_f32 v32, v99, s19, -v143
	v_add_f32_e32 v131, v132, v131
	v_mov_b32_e32 v132, v183
	v_add_f32_e32 v2, v32, v2
	v_fma_f32 v32, v101, s16, -v144
	v_fmac_f32_e32 v132, 0x3f4c4adb, v100
	v_mul_f32_e32 v184, 0xbf7ba420, v119
	v_add_f32_e32 v2, v32, v2
	v_fma_f32 v32, v103, s10, -v145
	v_add_f32_e32 v131, v132, v131
	v_mov_b32_e32 v132, v184
	v_add_f32_e32 v2, v32, v2
	v_fma_f32 v32, v105, s18, -v146
	;; [unrolled: 8-line block ×3, first 2 shown]
	v_fmac_f32_e32 v149, 0xbf7ee86f, v96
	v_fmac_f32_e32 v132, 0xbf06c442, v104
	v_mul_f32_e32 v186, 0xbe8c1d8e, v123
	v_add_f32_e32 v2, v32, v2
	v_add_f32_e32 v32, v72, v149
	v_fmac_f32_e32 v150, 0xbe3c28d5, v98
	v_add_f32_e32 v131, v132, v131
	v_mov_b32_e32 v132, v186
	v_add_f32_e32 v32, v150, v32
	v_fmac_f32_e32 v151, 0x3f763a35, v100
	v_fmac_f32_e32 v132, 0xbf763a35, v106
	v_mul_f32_e32 v187, 0x3ee437d1, v125
	v_add_f32_e32 v32, v151, v32
	v_fmac_f32_e32 v152, 0x3eb8f4ab, v102
	v_add_f32_e32 v131, v132, v131
	v_mov_b32_e32 v132, v187
	v_add_f32_e32 v32, v152, v32
	v_fmac_f32_e32 v153, 0xbf65296c, v104
	v_fmac_f32_e32 v132, 0xbf65296c, v108
	v_mul_f32_e32 v188, 0x3f6eb680, v126
	;; [unrolled: 8-line block ×3, first 2 shown]
	v_add_f32_e32 v32, v155, v32
	v_fmac_f32_e32 v156, 0x3f2c7751, v110
	v_add_f32_e32 v132, v132, v131
	v_mov_b32_e32 v131, v189
	v_mul_f32_e32 v190, 0xbf7ee86f, v113
	v_add_f32_e32 v33, v156, v32
	v_fma_f32 v32, v95, s18, -v157
	v_fmac_f32_e32 v131, 0x3f3d2fb0, v95
	v_mov_b32_e32 v191, v190
	v_add_f32_e32 v32, v71, v32
	v_fma_f32 v36, v97, s10, -v158
	v_add_f32_e32 v131, v71, v131
	v_fmac_f32_e32 v191, 0x3dbcf732, v97
	v_add_f32_e32 v32, v36, v32
	v_fma_f32 v36, v99, s11, -v159
	v_add_f32_e32 v131, v191, v131
	v_mul_f32_e32 v191, 0xbf4c4adb, v115
	v_add_f32_e32 v32, v36, v32
	v_fma_f32 v36, v101, s17, -v160
	v_mov_b32_e32 v192, v191
	v_add_f32_e32 v32, v36, v32
	v_fma_f32 v36, v103, s16, -v161
	v_fmac_f32_e32 v192, 0xbf1a4643, v99
	v_add_f32_e32 v32, v36, v32
	v_fma_f32 v36, v105, s9, -v162
	v_add_f32_e32 v131, v192, v131
	v_mul_f32_e32 v192, 0xbe3c28d5, v116
	v_add_f32_e32 v32, v36, v32
	v_fma_f32 v36, v107, s8, -v163
	v_mov_b32_e32 v193, v192
	v_add_f32_e32 v32, v36, v32
	v_fma_f32 v36, v109, s19, -v164
	v_fmac_f32_e32 v165, 0xbf65296c, v96
	v_fmac_f32_e32 v193, 0xbf7ba420, v101
	v_add_f32_e32 v32, v36, v32
	v_add_f32_e32 v36, v72, v165
	v_fmac_f32_e32 v166, 0xbf4c4adb, v98
	v_add_f32_e32 v131, v193, v131
	v_mul_f32_e32 v193, 0x3f06c442, v118
	v_add_f32_e32 v36, v166, v36
	v_fmac_f32_e32 v167, 0x3e3c28d5, v100
	v_mov_b32_e32 v194, v193
	v_add_f32_e32 v36, v167, v36
	v_fmac_f32_e32 v168, 0x3f763a35, v102
	v_fmac_f32_e32 v194, 0xbf59a7d5, v103
	v_add_f32_e32 v36, v168, v36
	v_fmac_f32_e32 v169, 0x3f2c7751, v104
	v_add_f32_e32 v131, v194, v131
	v_mul_f32_e32 v194, 0x3f763a35, v120
	v_add_f32_e32 v36, v169, v36
	v_fmac_f32_e32 v170, 0xbeb8f4ab, v106
	v_mov_b32_e32 v195, v194
	v_add_f32_e32 v36, v170, v36
	v_fmac_f32_e32 v171, 0xbf7ee86f, v108
	v_fmac_f32_e32 v195, 0xbe8c1d8e, v105
	v_add_f32_e32 v36, v171, v36
	v_fmac_f32_e32 v172, 0xbf06c442, v110
	v_add_f32_e32 v131, v195, v131
	v_mul_f32_e32 v195, 0x3f65296c, v122
	v_add_f32_e32 v37, v172, v36
	v_fma_f32 v36, v95, s16, -v173
	v_mov_b32_e32 v196, v195
	v_add_f32_e32 v36, v71, v36
	v_fma_f32 v38, v97, s8, -v174
	v_fmac_f32_e32 v196, 0x3ee437d1, v107
	v_add_f32_e32 v36, v38, v36
	v_fma_f32 v38, v99, s10, -v175
	v_add_f32_e32 v131, v196, v131
	v_mul_f32_e32 v196, 0x3eb8f4ab, v124
	v_add_f32_e32 v36, v38, v36
	v_fma_f32 v38, v101, s11, -v176
	v_mov_b32_e32 v197, v196
	v_add_f32_e32 v36, v38, v36
	v_fma_f32 v38, v103, s19, -v177
	v_fmac_f32_e32 v197, 0x3f6eb680, v109
	v_add_f32_e32 v36, v38, v36
	v_fma_f32 v38, v105, s17, -v178
	v_add_f32_e32 v131, v197, v131
	v_mul_f32_e32 v197, 0x3f6eb680, v112
	v_add_f32_e32 v36, v38, v36
	v_fma_f32 v38, v107, s18, -v179
	v_mov_b32_e32 v112, v197
	v_mul_f32_e32 v114, 0x3f3d2fb0, v114
	v_add_f32_e32 v36, v38, v36
	v_fma_f32 v38, v109, s9, -v180
	v_fmac_f32_e32 v181, 0xbf2c7751, v96
	v_fmac_f32_e32 v112, 0x3eb8f4ab, v96
	v_mov_b32_e32 v198, v114
	v_add_f32_e32 v36, v38, v36
	v_add_f32_e32 v38, v72, v181
	v_fmac_f32_e32 v182, 0xbf7ee86f, v98
	v_add_f32_e32 v112, v72, v112
	v_fmac_f32_e32 v198, 0x3f2c7751, v98
	v_mul_f32_e32 v117, 0x3ee437d1, v117
	v_add_f32_e32 v38, v182, v38
	v_fmac_f32_e32 v183, 0xbf4c4adb, v100
	v_add_f32_e32 v112, v198, v112
	v_mov_b32_e32 v198, v117
	v_add_f32_e32 v38, v183, v38
	v_fmac_f32_e32 v184, 0xbe3c28d5, v102
	v_fmac_f32_e32 v198, 0x3f65296c, v100
	v_mul_f32_e32 v119, 0x3dbcf732, v119
	v_add_f32_e32 v38, v184, v38
	v_fmac_f32_e32 v185, 0x3f06c442, v104
	v_add_f32_e32 v112, v198, v112
	v_mov_b32_e32 v198, v119
	v_add_f32_e32 v38, v185, v38
	v_fmac_f32_e32 v186, 0x3f763a35, v106
	;; [unrolled: 8-line block ×3, first 2 shown]
	v_fmac_f32_e32 v198, 0x3f763a35, v104
	v_mul_f32_e32 v123, 0xbf1a4643, v123
	v_add_f32_e32 v39, v188, v38
	v_fma_f32 v38, v95, s19, -v189
	v_add_f32_e32 v112, v198, v112
	v_mov_b32_e32 v198, v123
	v_add_f32_e32 v38, v71, v38
	v_fma_f32 v40, v97, s18, -v190
	v_fmac_f32_e32 v198, 0x3f4c4adb, v106
	v_mul_f32_e32 v125, 0xbf59a7d5, v125
	v_add_f32_e32 v38, v40, v38
	v_fma_f32 v40, v99, s8, -v191
	v_add_f32_e32 v112, v198, v112
	v_mov_b32_e32 v198, v125
	v_add_f32_e32 v38, v40, v38
	v_fma_f32 v40, v101, s10, -v192
	;; [unrolled: 8-line block ×3, first 2 shown]
	v_fmac_f32_e32 v198, 0x3e3c28d5, v110
	v_add_f32_e32 v38, v40, v38
	v_fma_f32 v40, v107, s16, -v195
	v_add_f32_e32 v112, v198, v112
	v_mul_f32_e32 v198, 0xbeb8f4ab, v111
	v_add_f32_e32 v38, v40, v38
	v_fma_f32 v40, v109, s17, -v196
	v_fmac_f32_e32 v197, 0xbeb8f4ab, v96
	v_mov_b32_e32 v111, v198
	v_mul_f32_e32 v113, 0xbf2c7751, v113
	v_add_f32_e32 v38, v40, v38
	v_add_f32_e32 v40, v72, v197
	v_fmac_f32_e32 v114, 0xbf2c7751, v98
	v_fmac_f32_e32 v111, 0x3f6eb680, v95
	v_mov_b32_e32 v199, v113
	v_add_f32_e32 v40, v114, v40
	v_fmac_f32_e32 v117, 0xbf65296c, v100
	v_add_f32_e32 v111, v71, v111
	v_fmac_f32_e32 v199, 0x3f3d2fb0, v97
	v_mul_f32_e32 v115, 0xbf65296c, v115
	v_add_f32_e32 v40, v117, v40
	v_fmac_f32_e32 v119, 0xbf7ee86f, v102
	v_add_f32_e32 v111, v199, v111
	v_mov_b32_e32 v199, v115
	v_add_f32_e32 v40, v119, v40
	v_fmac_f32_e32 v121, 0xbf763a35, v104
	v_fmac_f32_e32 v199, 0x3ee437d1, v99
	v_mul_f32_e32 v116, 0xbf7ee86f, v116
	v_add_f32_e32 v40, v121, v40
	v_fmac_f32_e32 v123, 0xbf4c4adb, v106
	v_add_f32_e32 v111, v199, v111
	v_mov_b32_e32 v199, v116
	v_add_f32_e32 v40, v123, v40
	v_fmac_f32_e32 v125, 0xbf06c442, v108
	v_fmac_f32_e32 v199, 0x3dbcf732, v101
	v_mul_f32_e32 v118, 0xbf763a35, v118
	v_add_f32_e32 v40, v125, v40
	v_fmac_f32_e32 v126, 0xbe3c28d5, v110
	v_add_f32_e32 v111, v199, v111
	v_mov_b32_e32 v199, v118
	v_add_f32_e32 v41, v126, v40
	v_fma_f32 v40, v95, s17, -v198
	v_fmac_f32_e32 v199, 0xbe8c1d8e, v103
	v_mul_f32_e32 v120, 0xbf4c4adb, v120
	v_add_f32_e32 v40, v71, v40
	v_fma_f32 v42, v97, s19, -v113
	v_add_f32_e32 v111, v199, v111
	v_mov_b32_e32 v199, v120
	v_add_f32_e32 v40, v42, v40
	v_fma_f32 v42, v99, s16, -v115
	v_fmac_f32_e32 v199, 0xbf1a4643, v105
	v_mul_f32_e32 v122, 0xbf06c442, v122
	v_add_f32_e32 v40, v42, v40
	v_fma_f32 v42, v101, s18, -v116
	;; [unrolled: 8-line block ×3, first 2 shown]
	v_add_f32_e32 v111, v199, v111
	v_mov_b32_e32 v199, v124
	v_add_f32_e32 v40, v42, v40
	v_fma_f32 v42, v107, s9, -v122
	v_fmac_f32_e32 v199, 0xbf7ba420, v109
	v_add_f32_e32 v40, v42, v40
	v_fma_f32 v42, v109, s10, -v124
	v_add_f32_e32 v111, v199, v111
	v_add_f32_e32 v40, v42, v40
	v_lshl_add_u32 v42, v88, 3, v87
	ds_write2_b64 v42, v[0:1], v[111:112] offset1:1
	ds_write2_b64 v42, v[131:132], v[129:130] offset0:2 offset1:3
	ds_write2_b64 v42, v[127:128], v[83:84] offset0:4 offset1:5
	;; [unrolled: 1-line block ×7, first 2 shown]
	ds_write_b64 v42, v[40:41] offset:128
.LBB0_17:
	s_or_b64 exec, exec, s[2:3]
	v_add_u32_e32 v32, 0x800, v90
	s_waitcnt lgkmcnt(0)
	s_barrier
	ds_read2_b64 v[0:3], v90 offset1:68
	ds_read2_b64 v[40:43], v90 offset0:170 offset1:238
	ds_read2_b64 v[36:39], v32 offset0:84 offset1:152
	v_add_u32_e32 v32, 0xc00, v90
	ds_read2_b64 v[32:35], v32 offset0:126 offset1:194
	s_and_saveexec_b64 s[2:3], s[0:1]
	s_cbranch_execz .LBB0_19
; %bb.18:
	ds_read_b64 v[73:74], v90 offset:1088
	ds_read_b64 v[79:80], v90 offset:2448
	;; [unrolled: 1-line block ×4, first 2 shown]
.LBB0_19:
	s_or_b64 exec, exec, s[2:3]
	s_waitcnt lgkmcnt(2)
	v_mul_f32_e32 v44, v13, v41
	v_mul_f32_e32 v13, v13, v40
	v_fmac_f32_e32 v44, v12, v40
	v_fma_f32 v12, v12, v41, -v13
	s_waitcnt lgkmcnt(1)
	v_mul_f32_e32 v13, v15, v37
	v_mul_f32_e32 v15, v15, v36
	v_fmac_f32_e32 v13, v14, v36
	v_fma_f32 v14, v14, v37, -v15
	s_waitcnt lgkmcnt(0)
	v_mul_f32_e32 v15, v66, v33
	v_fmac_f32_e32 v15, v65, v32
	v_mul_f32_e32 v32, v66, v32
	v_fma_f32 v32, v65, v33, -v32
	v_mul_f32_e32 v33, v9, v43
	v_mul_f32_e32 v9, v9, v42
	v_fmac_f32_e32 v33, v8, v42
	v_fma_f32 v36, v8, v43, -v9
	v_mul_f32_e32 v37, v11, v39
	v_mul_f32_e32 v8, v11, v38
	v_fmac_f32_e32 v37, v10, v38
	;; [unrolled: 4-line block ×3, first 2 shown]
	v_fma_f32 v34, v67, v35, -v8
	v_sub_f32_e32 v13, v0, v13
	v_sub_f32_e32 v14, v1, v14
	v_sub_f32_e32 v11, v44, v15
	v_sub_f32_e32 v10, v12, v32
	v_fma_f32 v8, v0, 2.0, -v13
	v_fma_f32 v9, v1, 2.0, -v14
	;; [unrolled: 1-line block ×4, first 2 shown]
	v_add_f32_e32 v10, v13, v10
	v_sub_f32_e32 v11, v14, v11
	v_sub_f32_e32 v35, v2, v37
	;; [unrolled: 1-line block ×7, first 2 shown]
	v_fma_f32 v12, v13, 2.0, -v10
	v_fma_f32 v13, v14, 2.0, -v11
	;; [unrolled: 1-line block ×8, first 2 shown]
	v_sub_f32_e32 v2, v14, v2
	v_sub_f32_e32 v3, v15, v3
	v_add_f32_e32 v32, v35, v32
	v_sub_f32_e32 v33, v37, v38
	v_fma_f32 v14, v14, 2.0, -v2
	v_fma_f32 v15, v15, 2.0, -v3
	;; [unrolled: 1-line block ×4, first 2 shown]
	s_barrier
	ds_write2_b64 v93, v[8:9], v[12:13] offset1:17
	ds_write2_b64 v93, v[0:1], v[10:11] offset0:34 offset1:51
	ds_write2_b64 v94, v[14:15], v[34:35] offset1:17
	ds_write2_b64 v94, v[2:3], v[32:33] offset0:34 offset1:51
	s_and_saveexec_b64 s[2:3], s[0:1]
	s_cbranch_execz .LBB0_21
; %bb.20:
	v_mul_f32_e32 v0, v7, v77
	v_fma_f32 v0, v6, v78, -v0
	v_sub_f32_e32 v8, v74, v0
	v_mul_f32_e32 v9, v5, v80
	v_mul_f32_e32 v0, v64, v76
	v_fmac_f32_e32 v9, v4, v79
	v_fmac_f32_e32 v0, v63, v75
	v_sub_f32_e32 v10, v9, v0
	v_mul_f32_e32 v0, v7, v78
	v_fmac_f32_e32 v0, v6, v77
	v_sub_f32_e32 v6, v73, v0
	v_mul_f32_e32 v0, v5, v79
	v_fma_f32 v4, v4, v80, -v0
	v_mul_f32_e32 v0, v64, v75
	v_fma_f32 v0, v63, v76, -v0
	v_sub_f32_e32 v5, v4, v0
	v_sub_f32_e32 v1, v8, v10
	v_add_f32_e32 v0, v6, v5
	v_fma_f32 v7, v74, 2.0, -v8
	v_fma_f32 v4, v4, 2.0, -v5
	;; [unrolled: 1-line block ×4, first 2 shown]
	v_sub_f32_e32 v5, v7, v4
	v_fma_f32 v6, v73, 2.0, -v6
	v_fma_f32 v4, v9, 2.0, -v10
	v_mul_u32_u24_e32 v8, 0x44, v91
	v_sub_f32_e32 v4, v6, v4
	v_add_u32_e32 v8, v8, v92
	v_fma_f32 v7, v7, 2.0, -v5
	v_fma_f32 v6, v6, 2.0, -v4
	v_lshl_add_u32 v8, v8, 3, v87
	ds_write2_b64 v8, v[6:7], v[2:3] offset1:17
	ds_write2_b64 v8, v[4:5], v[0:1] offset0:34 offset1:51
.LBB0_21:
	s_or_b64 exec, exec, s[2:3]
	s_waitcnt lgkmcnt(0)
	s_barrier
	ds_read2_b64 v[0:3], v90 offset1:68
	ds_read2_b64 v[4:7], v90 offset0:136 offset1:204
	v_add_u32_e32 v12, 0x800, v90
	ds_read2_b64 v[8:11], v12 offset0:16 offset1:220
	ds_read2_b64 v[12:15], v12 offset0:84 offset1:152
	v_add_u32_e32 v32, 0x1000, v90
	s_waitcnt lgkmcnt(3)
	v_mul_f32_e32 v36, v29, v3
	v_fmac_f32_e32 v36, v28, v2
	v_mul_f32_e32 v2, v29, v2
	v_fma_f32 v28, v28, v3, -v2
	s_waitcnt lgkmcnt(2)
	v_mul_f32_e32 v2, v31, v5
	v_fmac_f32_e32 v2, v30, v4
	v_mul_f32_e32 v3, v31, v4
	v_mul_f32_e32 v4, v25, v7
	ds_read2_b64 v[32:35], v32 offset0:32 offset1:100
	v_fma_f32 v3, v30, v5, -v3
	v_fmac_f32_e32 v4, v24, v6
	v_mul_f32_e32 v5, v25, v6
	s_waitcnt lgkmcnt(2)
	v_mul_f32_e32 v6, v27, v9
	v_fma_f32 v5, v24, v7, -v5
	v_fmac_f32_e32 v6, v26, v8
	v_mul_f32_e32 v7, v27, v8
	s_waitcnt lgkmcnt(1)
	v_mul_f32_e32 v8, v21, v13
	v_fma_f32 v7, v26, v9, -v7
	v_fmac_f32_e32 v8, v20, v12
	v_mul_f32_e32 v9, v21, v12
	v_mul_f32_e32 v12, v23, v15
	v_fma_f32 v9, v20, v13, -v9
	v_fmac_f32_e32 v12, v22, v14
	v_mul_f32_e32 v13, v23, v14
	v_mul_f32_e32 v14, v17, v11
	v_fmac_f32_e32 v14, v16, v10
	v_mul_f32_e32 v10, v17, v10
	v_fma_f32 v13, v22, v15, -v13
	v_fma_f32 v10, v16, v11, -v10
	s_waitcnt lgkmcnt(0)
	v_mul_f32_e32 v11, v19, v33
	v_mul_f32_e32 v15, v19, v32
	v_add_f32_e32 v19, v6, v12
	v_fma_f32 v15, v18, v33, -v15
	v_fma_f32 v19, -0.5, v19, v0
	v_fmac_f32_e32 v11, v18, v32
	v_sub_f32_e32 v20, v3, v15
	v_mov_b32_e32 v21, v19
	v_fmac_f32_e32 v21, 0xbf737871, v20
	v_sub_f32_e32 v22, v7, v13
	v_sub_f32_e32 v23, v2, v6
	;; [unrolled: 1-line block ×3, first 2 shown]
	v_fmac_f32_e32 v19, 0x3f737871, v20
	v_fmac_f32_e32 v21, 0xbf167918, v22
	v_add_f32_e32 v23, v23, v24
	v_fmac_f32_e32 v19, 0x3f167918, v22
	v_fmac_f32_e32 v21, 0x3e9e377a, v23
	;; [unrolled: 1-line block ×3, first 2 shown]
	v_add_f32_e32 v23, v2, v11
	v_fma_f32 v23, -0.5, v23, v0
	v_mov_b32_e32 v24, v23
	v_add_f32_e32 v18, v0, v2
	v_fmac_f32_e32 v24, 0x3f737871, v22
	v_sub_f32_e32 v0, v6, v2
	v_sub_f32_e32 v25, v12, v11
	v_fmac_f32_e32 v23, 0xbf737871, v22
	v_fmac_f32_e32 v24, 0xbf167918, v20
	v_add_f32_e32 v0, v0, v25
	v_fmac_f32_e32 v23, 0x3f167918, v20
	v_fmac_f32_e32 v24, 0x3e9e377a, v0
	;; [unrolled: 1-line block ×3, first 2 shown]
	v_add_f32_e32 v0, v1, v3
	v_add_f32_e32 v0, v0, v7
	;; [unrolled: 1-line block ×6, first 2 shown]
	v_fma_f32 v22, -0.5, v0, v1
	v_add_f32_e32 v18, v18, v12
	v_sub_f32_e32 v0, v2, v11
	v_mov_b32_e32 v25, v22
	v_add_f32_e32 v18, v18, v11
	v_fmac_f32_e32 v25, 0x3f737871, v0
	v_sub_f32_e32 v2, v6, v12
	v_sub_f32_e32 v6, v3, v7
	;; [unrolled: 1-line block ×3, first 2 shown]
	v_fmac_f32_e32 v22, 0xbf737871, v0
	v_fmac_f32_e32 v25, 0x3f167918, v2
	v_add_f32_e32 v6, v6, v11
	v_fmac_f32_e32 v22, 0xbf167918, v2
	v_fmac_f32_e32 v25, 0x3e9e377a, v6
	;; [unrolled: 1-line block ×3, first 2 shown]
	v_add_f32_e32 v6, v3, v15
	v_fma_f32 v26, -0.5, v6, v1
	v_mov_b32_e32 v27, v26
	v_fmac_f32_e32 v27, 0xbf737871, v2
	v_fmac_f32_e32 v26, 0x3f737871, v2
	;; [unrolled: 1-line block ×4, first 2 shown]
	v_add_f32_e32 v0, v36, v4
	v_mul_f32_e32 v16, v70, v35
	v_add_f32_e32 v0, v0, v8
	v_fmac_f32_e32 v16, v69, v34
	v_add_f32_e32 v0, v0, v14
	v_mul_f32_e32 v17, v70, v34
	v_add_f32_e32 v11, v0, v16
	v_add_f32_e32 v0, v8, v14
	v_fma_f32 v17, v69, v35, -v17
	v_sub_f32_e32 v1, v7, v3
	v_sub_f32_e32 v3, v13, v15
	v_fma_f32 v12, -0.5, v0, v36
	v_add_f32_e32 v1, v1, v3
	v_sub_f32_e32 v0, v5, v17
	v_mov_b32_e32 v3, v12
	v_fmac_f32_e32 v27, 0x3e9e377a, v1
	v_fmac_f32_e32 v26, 0x3e9e377a, v1
	;; [unrolled: 1-line block ×3, first 2 shown]
	v_sub_f32_e32 v1, v9, v10
	v_sub_f32_e32 v2, v4, v8
	;; [unrolled: 1-line block ×3, first 2 shown]
	v_fmac_f32_e32 v12, 0x3f737871, v0
	v_fmac_f32_e32 v3, 0xbf167918, v1
	v_add_f32_e32 v2, v2, v6
	v_fmac_f32_e32 v12, 0x3f167918, v1
	v_fmac_f32_e32 v3, 0x3e9e377a, v2
	;; [unrolled: 1-line block ×3, first 2 shown]
	v_add_f32_e32 v2, v4, v16
	v_fmac_f32_e32 v36, -0.5, v2
	v_mov_b32_e32 v7, v36
	v_fmac_f32_e32 v7, 0x3f737871, v1
	v_fmac_f32_e32 v36, 0xbf737871, v1
	v_fmac_f32_e32 v7, 0xbf167918, v0
	v_fmac_f32_e32 v36, 0x3f167918, v0
	v_add_f32_e32 v0, v28, v5
	v_add_f32_e32 v0, v0, v9
	;; [unrolled: 1-line block ×5, first 2 shown]
	v_sub_f32_e32 v2, v8, v4
	v_sub_f32_e32 v6, v14, v16
	v_fma_f32 v15, -0.5, v0, v28
	v_add_f32_e32 v2, v2, v6
	v_sub_f32_e32 v0, v4, v16
	v_mov_b32_e32 v16, v15
	v_fmac_f32_e32 v7, 0x3e9e377a, v2
	v_fmac_f32_e32 v36, 0x3e9e377a, v2
	;; [unrolled: 1-line block ×3, first 2 shown]
	v_sub_f32_e32 v1, v8, v14
	v_sub_f32_e32 v2, v5, v9
	;; [unrolled: 1-line block ×3, first 2 shown]
	v_fmac_f32_e32 v15, 0xbf737871, v0
	v_fmac_f32_e32 v16, 0x3f167918, v1
	v_add_f32_e32 v2, v2, v4
	v_fmac_f32_e32 v15, 0xbf167918, v1
	v_fmac_f32_e32 v16, 0x3e9e377a, v2
	;; [unrolled: 1-line block ×3, first 2 shown]
	v_add_f32_e32 v2, v5, v17
	v_fmac_f32_e32 v28, -0.5, v2
	v_mov_b32_e32 v14, v28
	v_fmac_f32_e32 v14, 0xbf737871, v1
	v_sub_f32_e32 v2, v9, v5
	v_sub_f32_e32 v4, v10, v17
	v_fmac_f32_e32 v28, 0x3f737871, v1
	v_fmac_f32_e32 v14, 0x3f167918, v0
	v_add_f32_e32 v2, v2, v4
	v_fmac_f32_e32 v28, 0xbf167918, v0
	v_fmac_f32_e32 v14, 0x3e9e377a, v2
	;; [unrolled: 1-line block ×3, first 2 shown]
	v_mul_f32_e32 v17, 0xbf167918, v16
	v_mul_f32_e32 v29, 0xbf737871, v14
	;; [unrolled: 1-line block ×8, first 2 shown]
	v_add_f32_e32 v0, v18, v11
	v_fmac_f32_e32 v17, 0x3f4f1bbd, v3
	v_fmac_f32_e32 v29, 0x3e9e377a, v7
	;; [unrolled: 1-line block ×4, first 2 shown]
	v_add_f32_e32 v1, v20, v13
	v_fmac_f32_e32 v32, 0x3f167918, v3
	v_fmac_f32_e32 v33, 0x3f737871, v7
	;; [unrolled: 1-line block ×4, first 2 shown]
	v_add_f32_e32 v2, v21, v17
	v_add_f32_e32 v4, v24, v29
	v_add_f32_e32 v6, v23, v30
	v_add_f32_e32 v8, v19, v31
	v_add_f32_e32 v3, v25, v32
	v_add_f32_e32 v5, v27, v33
	v_add_f32_e32 v7, v26, v28
	v_add_f32_e32 v9, v22, v34
	ds_write_b64 v89, v[0:1]
	ds_write2_b64 v89, v[2:3], v[4:5] offset0:68 offset1:136
	v_add_u32_e32 v0, 0x400, v89
	s_movk_i32 s2, 0x1000
	v_sub_f32_e32 v10, v18, v11
	v_sub_f32_e32 v12, v21, v17
	;; [unrolled: 1-line block ×8, first 2 shown]
	ds_write2_b64 v0, v[6:7], v[8:9] offset0:76 offset1:144
	v_add_u32_e32 v0, 0x800, v89
	v_add_u32_e32 v1, 0xc00, v89
	v_sub_f32_e32 v18, v19, v31
	v_sub_f32_e32 v19, v22, v34
	ds_write2_b64 v0, v[10:11], v[12:13] offset0:84 offset1:152
	ds_write2_b64 v1, v[14:15], v[16:17] offset0:92 offset1:160
	ds_write_b64 v89, v[18:19] offset:4896
	s_waitcnt lgkmcnt(0)
	s_barrier
	s_and_b64 exec, exec, vcc
	s_cbranch_execz .LBB0_23
; %bb.22:
	global_load_dwordx2 v[1:2], v86, s[12:13]
	ds_read_b64 v[5:6], v89
	v_mad_u64_u32 v[3:4], s[0:1], s6, v56, 0
	v_mad_u64_u32 v[7:8], s[0:1], s4, v85, 0
	s_waitcnt lgkmcnt(0)
	v_mad_u64_u32 v[9:10], s[6:7], s7, v56, v[4:5]
	s_mov_b32 s0, 0x18181818
	s_mov_b32 s1, 0x3f581818
	v_mad_u64_u32 v[10:11], s[6:7], s5, v85, v[8:9]
	v_mov_b32_e32 v12, s15
	s_mul_i32 s6, s5, 0x140
	v_mov_b32_e32 v8, v10
	v_lshlrev_b64 v[7:8], 3, v[7:8]
	s_mul_hi_u32 s7, s4, 0x140
	s_mul_i32 s3, s4, 0x140
	s_add_i32 s6, s7, s6
	s_mul_i32 s7, s5, 0x280
	s_waitcnt vmcnt(0)
	v_mul_f32_e32 v4, v6, v2
	v_mul_f32_e32 v2, v5, v2
	v_fmac_f32_e32 v4, v5, v1
	v_fma_f32 v5, v1, v6, -v2
	v_cvt_f64_f32_e32 v[1:2], v4
	v_cvt_f64_f32_e32 v[5:6], v5
	v_mov_b32_e32 v4, v9
	v_lshlrev_b64 v[3:4], 3, v[3:4]
	v_mul_f64 v[1:2], v[1:2], s[0:1]
	v_mul_f64 v[5:6], v[5:6], s[0:1]
	v_add_co_u32_e32 v10, vcc, s14, v3
	v_addc_co_u32_e32 v11, vcc, v12, v4, vcc
	v_cvt_f32_f64_e32 v1, v[1:2]
	v_cvt_f32_f64_e32 v2, v[5:6]
	v_add_co_u32_e32 v5, vcc, v10, v7
	v_addc_co_u32_e32 v6, vcc, v11, v8, vcc
	global_store_dwordx2 v[5:6], v[1:2], off
	global_load_dwordx2 v[7:8], v86, s[12:13] offset:320
	ds_read2_b64 v[1:4], v89 offset0:40 offset1:80
	v_add_co_u32_e32 v5, vcc, s3, v5
	s_waitcnt vmcnt(0) lgkmcnt(0)
	v_mul_f32_e32 v9, v2, v8
	v_mul_f32_e32 v8, v1, v8
	v_fmac_f32_e32 v9, v1, v7
	v_fma_f32 v7, v7, v2, -v8
	v_cvt_f64_f32_e32 v[1:2], v9
	v_cvt_f64_f32_e32 v[7:8], v7
	v_mov_b32_e32 v9, s6
	v_addc_co_u32_e32 v6, vcc, v6, v9, vcc
	v_mul_f64 v[1:2], v[1:2], s[0:1]
	v_mul_f64 v[7:8], v[7:8], s[0:1]
	v_cvt_f32_f64_e32 v1, v[1:2]
	v_cvt_f32_f64_e32 v2, v[7:8]
	global_store_dwordx2 v[5:6], v[1:2], off
	global_load_dwordx2 v[1:2], v86, s[12:13] offset:640
	v_add_co_u32_e32 v5, vcc, s3, v5
	s_waitcnt vmcnt(0)
	v_mul_f32_e32 v7, v4, v2
	v_mul_f32_e32 v2, v3, v2
	v_fmac_f32_e32 v7, v3, v1
	v_fma_f32 v3, v1, v4, -v2
	v_cvt_f64_f32_e32 v[1:2], v7
	v_cvt_f64_f32_e32 v[3:4], v3
	v_mov_b32_e32 v7, s6
	v_addc_co_u32_e32 v6, vcc, v6, v7, vcc
	v_mul_f64 v[1:2], v[1:2], s[0:1]
	v_mul_f64 v[3:4], v[3:4], s[0:1]
	v_cvt_f32_f64_e32 v1, v[1:2]
	v_cvt_f32_f64_e32 v2, v[3:4]
	global_store_dwordx2 v[5:6], v[1:2], off
	global_load_dwordx2 v[7:8], v86, s[12:13] offset:960
	ds_read2_b64 v[1:4], v89 offset0:120 offset1:160
	v_add_co_u32_e32 v5, vcc, s3, v5
	s_waitcnt vmcnt(0) lgkmcnt(0)
	v_mul_f32_e32 v9, v2, v8
	v_mul_f32_e32 v8, v1, v8
	v_fmac_f32_e32 v9, v1, v7
	v_fma_f32 v7, v7, v2, -v8
	v_cvt_f64_f32_e32 v[1:2], v9
	v_cvt_f64_f32_e32 v[7:8], v7
	v_mov_b32_e32 v9, s6
	v_addc_co_u32_e32 v6, vcc, v6, v9, vcc
	v_mul_f64 v[1:2], v[1:2], s[0:1]
	v_mul_f64 v[7:8], v[7:8], s[0:1]
	v_cvt_f32_f64_e32 v1, v[1:2]
	v_cvt_f32_f64_e32 v2, v[7:8]
	global_store_dwordx2 v[5:6], v[1:2], off
	global_load_dwordx2 v[1:2], v86, s[12:13] offset:1280
	v_add_co_u32_e32 v5, vcc, s3, v5
	s_waitcnt vmcnt(0)
	v_mul_f32_e32 v7, v4, v2
	v_mul_f32_e32 v2, v3, v2
	v_fmac_f32_e32 v7, v3, v1
	v_fma_f32 v3, v1, v4, -v2
	v_cvt_f64_f32_e32 v[1:2], v7
	v_cvt_f64_f32_e32 v[3:4], v3
	v_mov_b32_e32 v7, s6
	v_addc_co_u32_e32 v6, vcc, v6, v7, vcc
	v_mul_f64 v[1:2], v[1:2], s[0:1]
	v_mul_f64 v[3:4], v[3:4], s[0:1]
	v_cvt_f32_f64_e32 v1, v[1:2]
	v_cvt_f32_f64_e32 v2, v[3:4]
	;; [unrolled: 33-line block ×3, first 2 shown]
	global_store_dwordx2 v[5:6], v[1:2], off
	global_load_dwordx2 v[7:8], v86, s[12:13] offset:2240
	ds_read2_b64 v[1:4], v0 offset0:24 offset1:64
	v_add_co_u32_e32 v5, vcc, s3, v5
	s_waitcnt vmcnt(0) lgkmcnt(0)
	v_mul_f32_e32 v9, v2, v8
	v_mul_f32_e32 v8, v1, v8
	v_fmac_f32_e32 v9, v1, v7
	v_fma_f32 v7, v7, v2, -v8
	v_cvt_f64_f32_e32 v[1:2], v9
	v_cvt_f64_f32_e32 v[7:8], v7
	v_mov_b32_e32 v9, s6
	v_addc_co_u32_e32 v6, vcc, v6, v9, vcc
	v_mul_f64 v[1:2], v[1:2], s[0:1]
	v_mul_f64 v[7:8], v[7:8], s[0:1]
	v_or_b32_e32 v9, 0x140, v85
	v_cvt_f32_f64_e32 v1, v[1:2]
	v_cvt_f32_f64_e32 v2, v[7:8]
	v_mad_u64_u32 v[7:8], s[8:9], s4, v9, 0
	global_store_dwordx2 v[5:6], v[1:2], off
	global_load_dwordx2 v[1:2], v86, s[12:13] offset:2560
	v_mad_u64_u32 v[8:9], s[8:9], s5, v9, v[8:9]
	v_lshlrev_b64 v[7:8], 3, v[7:8]
	s_waitcnt vmcnt(0)
	v_mul_f32_e32 v12, v4, v2
	v_mul_f32_e32 v2, v3, v2
	v_fmac_f32_e32 v12, v3, v1
	v_fma_f32 v3, v1, v4, -v2
	v_cvt_f64_f32_e32 v[1:2], v12
	v_cvt_f64_f32_e32 v[3:4], v3
	v_add_u32_e32 v12, 0x1000, v89
	v_mul_f64 v[1:2], v[1:2], s[0:1]
	v_mul_f64 v[3:4], v[3:4], s[0:1]
	v_cvt_f32_f64_e32 v1, v[1:2]
	v_cvt_f32_f64_e32 v2, v[3:4]
	v_add_co_u32_e32 v3, vcc, v10, v7
	v_addc_co_u32_e32 v4, vcc, v11, v8, vcc
	global_store_dwordx2 v[3:4], v[1:2], off
	global_load_dwordx2 v[7:8], v86, s[12:13] offset:2880
	ds_read2_b64 v[1:4], v0 offset0:104 offset1:144
	s_waitcnt vmcnt(0) lgkmcnt(0)
	v_mul_f32_e32 v9, v2, v8
	v_mul_f32_e32 v8, v1, v8
	v_fmac_f32_e32 v9, v1, v7
	v_fma_f32 v7, v7, v2, -v8
	v_cvt_f64_f32_e32 v[1:2], v9
	v_cvt_f64_f32_e32 v[7:8], v7
	v_mov_b32_e32 v9, 0x280
	v_mad_u64_u32 v[5:6], s[8:9], s4, v9, v[5:6]
	v_mul_f64 v[1:2], v[1:2], s[0:1]
	v_mul_f64 v[7:8], v[7:8], s[0:1]
	v_add_u32_e32 v6, s7, v6
	v_mov_b32_e32 v9, s6
	v_cvt_f32_f64_e32 v1, v[1:2]
	v_cvt_f32_f64_e32 v2, v[7:8]
	global_store_dwordx2 v[5:6], v[1:2], off
	global_load_dwordx2 v[1:2], v86, s[12:13] offset:3200
	s_waitcnt vmcnt(0)
	v_mul_f32_e32 v7, v4, v2
	v_mul_f32_e32 v2, v3, v2
	v_fmac_f32_e32 v7, v3, v1
	v_fma_f32 v3, v1, v4, -v2
	v_cvt_f64_f32_e32 v[1:2], v7
	v_cvt_f64_f32_e32 v[3:4], v3
	v_mov_b32_e32 v7, s6
	v_mul_f64 v[1:2], v[1:2], s[0:1]
	v_mul_f64 v[3:4], v[3:4], s[0:1]
	v_cvt_f32_f64_e32 v1, v[1:2]
	v_cvt_f32_f64_e32 v2, v[3:4]
	v_add_co_u32_e32 v4, vcc, s3, v5
	v_addc_co_u32_e32 v5, vcc, v6, v7, vcc
	global_store_dwordx2 v[4:5], v[1:2], off
	global_load_dwordx2 v[6:7], v86, s[12:13] offset:3520
	ds_read2_b64 v[0:3], v0 offset0:184 offset1:224
	v_add_co_u32_e32 v4, vcc, s3, v4
	s_waitcnt vmcnt(0) lgkmcnt(0)
	v_mul_f32_e32 v8, v1, v7
	v_mul_f32_e32 v7, v0, v7
	v_fmac_f32_e32 v8, v0, v6
	v_fma_f32 v6, v6, v1, -v7
	v_cvt_f64_f32_e32 v[0:1], v8
	v_cvt_f64_f32_e32 v[6:7], v6
	v_mov_b32_e32 v8, s6
	v_addc_co_u32_e32 v5, vcc, v5, v8, vcc
	v_mul_f64 v[0:1], v[0:1], s[0:1]
	v_mul_f64 v[6:7], v[6:7], s[0:1]
	v_cvt_f32_f64_e32 v0, v[0:1]
	v_cvt_f32_f64_e32 v1, v[6:7]
	v_add_co_u32_e32 v7, vcc, s12, v86
	global_store_dwordx2 v[4:5], v[0:1], off
	global_load_dwordx2 v[0:1], v86, s[12:13] offset:3840
	s_waitcnt vmcnt(0)
	v_mul_f32_e32 v6, v3, v1
	v_mul_f32_e32 v1, v2, v1
	v_fmac_f32_e32 v6, v2, v0
	v_fma_f32 v2, v0, v3, -v1
	v_cvt_f64_f32_e32 v[0:1], v6
	v_cvt_f64_f32_e32 v[2:3], v2
	v_mov_b32_e32 v6, s13
	v_addc_co_u32_e32 v8, vcc, 0, v6, vcc
	v_mul_f64 v[0:1], v[0:1], s[0:1]
	v_mul_f64 v[2:3], v[2:3], s[0:1]
	v_add_co_u32_e32 v6, vcc, s2, v7
	v_addc_co_u32_e32 v7, vcc, 0, v8, vcc
	v_add_co_u32_e32 v4, vcc, s3, v4
	v_cvt_f32_f64_e32 v0, v[0:1]
	v_cvt_f32_f64_e32 v1, v[2:3]
	v_addc_co_u32_e32 v5, vcc, v5, v9, vcc
	global_store_dwordx2 v[4:5], v[0:1], off
	global_load_dwordx2 v[8:9], v[6:7], off offset:64
	ds_read2_b64 v[0:3], v12 offset0:8 offset1:48
	v_add_co_u32_e32 v4, vcc, s3, v4
	s_waitcnt vmcnt(0) lgkmcnt(0)
	v_mul_f32_e32 v13, v1, v9
	v_mul_f32_e32 v9, v0, v9
	v_fmac_f32_e32 v13, v0, v8
	v_fma_f32 v8, v8, v1, -v9
	v_cvt_f64_f32_e32 v[0:1], v13
	v_cvt_f64_f32_e32 v[8:9], v8
	v_mov_b32_e32 v13, s6
	v_addc_co_u32_e32 v5, vcc, v5, v13, vcc
	v_mul_f64 v[0:1], v[0:1], s[0:1]
	v_mul_f64 v[8:9], v[8:9], s[0:1]
	v_cvt_f32_f64_e32 v0, v[0:1]
	v_cvt_f32_f64_e32 v1, v[8:9]
	global_store_dwordx2 v[4:5], v[0:1], off
	global_load_dwordx2 v[0:1], v[6:7], off offset:384
	v_add_co_u32_e32 v4, vcc, s3, v4
	s_waitcnt vmcnt(0)
	v_mul_f32_e32 v8, v3, v1
	v_mul_f32_e32 v1, v2, v1
	v_fmac_f32_e32 v8, v2, v0
	v_fma_f32 v2, v0, v3, -v1
	v_cvt_f64_f32_e32 v[0:1], v8
	v_cvt_f64_f32_e32 v[2:3], v2
	v_mov_b32_e32 v8, s6
	v_addc_co_u32_e32 v5, vcc, v5, v8, vcc
	v_mul_f64 v[0:1], v[0:1], s[0:1]
	v_mul_f64 v[2:3], v[2:3], s[0:1]
	v_cvt_f32_f64_e32 v0, v[0:1]
	v_cvt_f32_f64_e32 v1, v[2:3]
	global_store_dwordx2 v[4:5], v[0:1], off
	global_load_dwordx2 v[6:7], v[6:7], off offset:704
	ds_read2_b64 v[0:3], v12 offset0:88 offset1:128
	v_mov_b32_e32 v12, s6
	v_add_co_u32_e32 v4, vcc, s3, v4
	v_addc_co_u32_e32 v5, vcc, v5, v12, vcc
	s_waitcnt vmcnt(0) lgkmcnt(0)
	v_mul_f32_e32 v8, v1, v7
	v_mul_f32_e32 v7, v0, v7
	v_fmac_f32_e32 v8, v0, v6
	v_fma_f32 v6, v6, v1, -v7
	v_cvt_f64_f32_e32 v[0:1], v8
	v_cvt_f64_f32_e32 v[6:7], v6
	v_or_b32_e32 v8, 0x280, v85
	v_lshlrev_b32_e32 v9, 3, v8
	v_mul_f64 v[0:1], v[0:1], s[0:1]
	v_mul_f64 v[6:7], v[6:7], s[0:1]
	v_cvt_f32_f64_e32 v0, v[0:1]
	v_cvt_f32_f64_e32 v1, v[6:7]
	global_store_dwordx2 v[4:5], v[0:1], off
	global_load_dwordx2 v[0:1], v9, s[12:13]
	v_mad_u64_u32 v[4:5], s[2:3], s4, v8, 0
	s_waitcnt vmcnt(0)
	v_mul_f32_e32 v6, v3, v1
	v_mul_f32_e32 v1, v2, v1
	v_fmac_f32_e32 v6, v2, v0
	v_fma_f32 v2, v0, v3, -v1
	v_cvt_f64_f32_e32 v[0:1], v6
	v_cvt_f64_f32_e32 v[2:3], v2
	v_mul_f64 v[0:1], v[0:1], s[0:1]
	v_mul_f64 v[2:3], v[2:3], s[0:1]
	v_mad_u64_u32 v[5:6], s[0:1], s5, v8, v[5:6]
	v_lshlrev_b64 v[4:5], 3, v[4:5]
	v_cvt_f32_f64_e32 v0, v[0:1]
	v_cvt_f32_f64_e32 v1, v[2:3]
	v_add_co_u32_e32 v2, vcc, v10, v4
	v_addc_co_u32_e32 v3, vcc, v11, v5, vcc
	global_store_dwordx2 v[2:3], v[0:1], off
.LBB0_23:
	s_endpgm
	.section	.rodata,"a",@progbits
	.p2align	6, 0x0
	.amdhsa_kernel bluestein_single_fwd_len680_dim1_sp_op_CI_CI
		.amdhsa_group_segment_fixed_size 16320
		.amdhsa_private_segment_fixed_size 0
		.amdhsa_kernarg_size 104
		.amdhsa_user_sgpr_count 6
		.amdhsa_user_sgpr_private_segment_buffer 1
		.amdhsa_user_sgpr_dispatch_ptr 0
		.amdhsa_user_sgpr_queue_ptr 0
		.amdhsa_user_sgpr_kernarg_segment_ptr 1
		.amdhsa_user_sgpr_dispatch_id 0
		.amdhsa_user_sgpr_flat_scratch_init 0
		.amdhsa_user_sgpr_private_segment_size 0
		.amdhsa_uses_dynamic_stack 0
		.amdhsa_system_sgpr_private_segment_wavefront_offset 0
		.amdhsa_system_sgpr_workgroup_id_x 1
		.amdhsa_system_sgpr_workgroup_id_y 0
		.amdhsa_system_sgpr_workgroup_id_z 0
		.amdhsa_system_sgpr_workgroup_info 0
		.amdhsa_system_vgpr_workitem_id 0
		.amdhsa_next_free_vgpr 256
		.amdhsa_next_free_sgpr 20
		.amdhsa_reserve_vcc 1
		.amdhsa_reserve_flat_scratch 0
		.amdhsa_float_round_mode_32 0
		.amdhsa_float_round_mode_16_64 0
		.amdhsa_float_denorm_mode_32 3
		.amdhsa_float_denorm_mode_16_64 3
		.amdhsa_dx10_clamp 1
		.amdhsa_ieee_mode 1
		.amdhsa_fp16_overflow 0
		.amdhsa_exception_fp_ieee_invalid_op 0
		.amdhsa_exception_fp_denorm_src 0
		.amdhsa_exception_fp_ieee_div_zero 0
		.amdhsa_exception_fp_ieee_overflow 0
		.amdhsa_exception_fp_ieee_underflow 0
		.amdhsa_exception_fp_ieee_inexact 0
		.amdhsa_exception_int_div_zero 0
	.end_amdhsa_kernel
	.text
.Lfunc_end0:
	.size	bluestein_single_fwd_len680_dim1_sp_op_CI_CI, .Lfunc_end0-bluestein_single_fwd_len680_dim1_sp_op_CI_CI
                                        ; -- End function
	.section	.AMDGPU.csdata,"",@progbits
; Kernel info:
; codeLenInByte = 18780
; NumSgprs: 24
; NumVgprs: 256
; ScratchSize: 0
; MemoryBound: 0
; FloatMode: 240
; IeeeMode: 1
; LDSByteSize: 16320 bytes/workgroup (compile time only)
; SGPRBlocks: 2
; VGPRBlocks: 63
; NumSGPRsForWavesPerEU: 24
; NumVGPRsForWavesPerEU: 256
; Occupancy: 1
; WaveLimiterHint : 1
; COMPUTE_PGM_RSRC2:SCRATCH_EN: 0
; COMPUTE_PGM_RSRC2:USER_SGPR: 6
; COMPUTE_PGM_RSRC2:TRAP_HANDLER: 0
; COMPUTE_PGM_RSRC2:TGID_X_EN: 1
; COMPUTE_PGM_RSRC2:TGID_Y_EN: 0
; COMPUTE_PGM_RSRC2:TGID_Z_EN: 0
; COMPUTE_PGM_RSRC2:TIDIG_COMP_CNT: 0
	.type	__hip_cuid_282b224a69906036,@object ; @__hip_cuid_282b224a69906036
	.section	.bss,"aw",@nobits
	.globl	__hip_cuid_282b224a69906036
__hip_cuid_282b224a69906036:
	.byte	0                               ; 0x0
	.size	__hip_cuid_282b224a69906036, 1

	.ident	"AMD clang version 19.0.0git (https://github.com/RadeonOpenCompute/llvm-project roc-6.4.0 25133 c7fe45cf4b819c5991fe208aaa96edf142730f1d)"
	.section	".note.GNU-stack","",@progbits
	.addrsig
	.addrsig_sym __hip_cuid_282b224a69906036
	.amdgpu_metadata
---
amdhsa.kernels:
  - .args:
      - .actual_access:  read_only
        .address_space:  global
        .offset:         0
        .size:           8
        .value_kind:     global_buffer
      - .actual_access:  read_only
        .address_space:  global
        .offset:         8
        .size:           8
        .value_kind:     global_buffer
      - .actual_access:  read_only
        .address_space:  global
        .offset:         16
        .size:           8
        .value_kind:     global_buffer
      - .actual_access:  read_only
        .address_space:  global
        .offset:         24
        .size:           8
        .value_kind:     global_buffer
      - .actual_access:  read_only
        .address_space:  global
        .offset:         32
        .size:           8
        .value_kind:     global_buffer
      - .offset:         40
        .size:           8
        .value_kind:     by_value
      - .address_space:  global
        .offset:         48
        .size:           8
        .value_kind:     global_buffer
      - .address_space:  global
        .offset:         56
        .size:           8
        .value_kind:     global_buffer
      - .address_space:  global
        .offset:         64
        .size:           8
        .value_kind:     global_buffer
      - .address_space:  global
        .offset:         72
        .size:           8
        .value_kind:     global_buffer
      - .offset:         80
        .size:           4
        .value_kind:     by_value
      - .address_space:  global
        .offset:         88
        .size:           8
        .value_kind:     global_buffer
      - .address_space:  global
        .offset:         96
        .size:           8
        .value_kind:     global_buffer
    .group_segment_fixed_size: 16320
    .kernarg_segment_align: 8
    .kernarg_segment_size: 104
    .language:       OpenCL C
    .language_version:
      - 2
      - 0
    .max_flat_workgroup_size: 204
    .name:           bluestein_single_fwd_len680_dim1_sp_op_CI_CI
    .private_segment_fixed_size: 0
    .sgpr_count:     24
    .sgpr_spill_count: 0
    .symbol:         bluestein_single_fwd_len680_dim1_sp_op_CI_CI.kd
    .uniform_work_group_size: 1
    .uses_dynamic_stack: false
    .vgpr_count:     256
    .vgpr_spill_count: 0
    .wavefront_size: 64
amdhsa.target:   amdgcn-amd-amdhsa--gfx906
amdhsa.version:
  - 1
  - 2
...

	.end_amdgpu_metadata
